;; amdgpu-corpus repo=ROCm/rocFFT kind=compiled arch=gfx1201 opt=O3
	.text
	.amdgcn_target "amdgcn-amd-amdhsa--gfx1201"
	.amdhsa_code_object_version 6
	.protected	fft_rtc_fwd_len4000_factors_10_10_10_4_wgs_200_tpt_200_halfLds_dp_op_CI_CI_unitstride_sbrr_C2R_dirReg ; -- Begin function fft_rtc_fwd_len4000_factors_10_10_10_4_wgs_200_tpt_200_halfLds_dp_op_CI_CI_unitstride_sbrr_C2R_dirReg
	.globl	fft_rtc_fwd_len4000_factors_10_10_10_4_wgs_200_tpt_200_halfLds_dp_op_CI_CI_unitstride_sbrr_C2R_dirReg
	.p2align	8
	.type	fft_rtc_fwd_len4000_factors_10_10_10_4_wgs_200_tpt_200_halfLds_dp_op_CI_CI_unitstride_sbrr_C2R_dirReg,@function
fft_rtc_fwd_len4000_factors_10_10_10_4_wgs_200_tpt_200_halfLds_dp_op_CI_CI_unitstride_sbrr_C2R_dirReg: ; @fft_rtc_fwd_len4000_factors_10_10_10_4_wgs_200_tpt_200_halfLds_dp_op_CI_CI_unitstride_sbrr_C2R_dirReg
; %bb.0:
	s_clause 0x2
	s_load_b128 s[8:11], s[0:1], 0x0
	s_load_b128 s[4:7], s[0:1], 0x58
	;; [unrolled: 1-line block ×3, first 2 shown]
	v_mul_u32_u24_e32 v1, 0x148, v0
	v_mov_b32_e32 v3, 0
	s_delay_alu instid0(VALU_DEP_2) | instskip(NEXT) | instid1(VALU_DEP_1)
	v_lshrrev_b32_e32 v1, 16, v1
	v_add_nc_u32_e32 v5, ttmp9, v1
	v_mov_b32_e32 v1, 0
	v_mov_b32_e32 v2, 0
	;; [unrolled: 1-line block ×3, first 2 shown]
	s_wait_kmcnt 0x0
	v_cmp_lt_u64_e64 s2, s[10:11], 2
	s_delay_alu instid0(VALU_DEP_1)
	s_and_b32 vcc_lo, exec_lo, s2
	s_cbranch_vccnz .LBB0_8
; %bb.1:
	s_load_b64 s[2:3], s[0:1], 0x10
	v_mov_b32_e32 v1, 0
	v_mov_b32_e32 v2, 0
	s_add_nc_u64 s[16:17], s[14:15], 8
	s_add_nc_u64 s[18:19], s[12:13], 8
	s_mov_b64 s[20:21], 1
	s_delay_alu instid0(VALU_DEP_1)
	v_dual_mov_b32 v41, v2 :: v_dual_mov_b32 v40, v1
	s_wait_kmcnt 0x0
	s_add_nc_u64 s[22:23], s[2:3], 8
	s_mov_b32 s3, 0
.LBB0_2:                                ; =>This Inner Loop Header: Depth=1
	s_load_b64 s[24:25], s[22:23], 0x0
                                        ; implicit-def: $vgpr44_vgpr45
	s_mov_b32 s2, exec_lo
	s_wait_kmcnt 0x0
	v_or_b32_e32 v4, s25, v6
	s_delay_alu instid0(VALU_DEP_1)
	v_cmpx_ne_u64_e32 0, v[3:4]
	s_wait_alu 0xfffe
	s_xor_b32 s26, exec_lo, s2
	s_cbranch_execz .LBB0_4
; %bb.3:                                ;   in Loop: Header=BB0_2 Depth=1
	s_cvt_f32_u32 s2, s24
	s_cvt_f32_u32 s27, s25
	s_sub_nc_u64 s[30:31], 0, s[24:25]
	s_wait_alu 0xfffe
	s_delay_alu instid0(SALU_CYCLE_1) | instskip(SKIP_1) | instid1(SALU_CYCLE_2)
	s_fmamk_f32 s2, s27, 0x4f800000, s2
	s_wait_alu 0xfffe
	v_s_rcp_f32 s2, s2
	s_delay_alu instid0(TRANS32_DEP_1) | instskip(SKIP_1) | instid1(SALU_CYCLE_2)
	s_mul_f32 s2, s2, 0x5f7ffffc
	s_wait_alu 0xfffe
	s_mul_f32 s27, s2, 0x2f800000
	s_wait_alu 0xfffe
	s_delay_alu instid0(SALU_CYCLE_2) | instskip(SKIP_1) | instid1(SALU_CYCLE_2)
	s_trunc_f32 s27, s27
	s_wait_alu 0xfffe
	s_fmamk_f32 s2, s27, 0xcf800000, s2
	s_cvt_u32_f32 s29, s27
	s_wait_alu 0xfffe
	s_delay_alu instid0(SALU_CYCLE_1) | instskip(SKIP_1) | instid1(SALU_CYCLE_2)
	s_cvt_u32_f32 s28, s2
	s_wait_alu 0xfffe
	s_mul_u64 s[34:35], s[30:31], s[28:29]
	s_wait_alu 0xfffe
	s_mul_hi_u32 s37, s28, s35
	s_mul_i32 s36, s28, s35
	s_mul_hi_u32 s2, s28, s34
	s_mul_i32 s33, s29, s34
	s_wait_alu 0xfffe
	s_add_nc_u64 s[36:37], s[2:3], s[36:37]
	s_mul_hi_u32 s27, s29, s34
	s_mul_hi_u32 s38, s29, s35
	s_add_co_u32 s2, s36, s33
	s_wait_alu 0xfffe
	s_add_co_ci_u32 s2, s37, s27
	s_mul_i32 s34, s29, s35
	s_add_co_ci_u32 s35, s38, 0
	s_wait_alu 0xfffe
	s_add_nc_u64 s[34:35], s[2:3], s[34:35]
	s_wait_alu 0xfffe
	v_add_co_u32 v4, s2, s28, s34
	s_delay_alu instid0(VALU_DEP_1) | instskip(SKIP_1) | instid1(VALU_DEP_1)
	s_cmp_lg_u32 s2, 0
	s_add_co_ci_u32 s29, s29, s35
	v_readfirstlane_b32 s28, v4
	s_wait_alu 0xfffe
	s_delay_alu instid0(VALU_DEP_1)
	s_mul_u64 s[30:31], s[30:31], s[28:29]
	s_wait_alu 0xfffe
	s_mul_hi_u32 s35, s28, s31
	s_mul_i32 s34, s28, s31
	s_mul_hi_u32 s2, s28, s30
	s_mul_i32 s33, s29, s30
	s_wait_alu 0xfffe
	s_add_nc_u64 s[34:35], s[2:3], s[34:35]
	s_mul_hi_u32 s27, s29, s30
	s_mul_hi_u32 s28, s29, s31
	s_wait_alu 0xfffe
	s_add_co_u32 s2, s34, s33
	s_add_co_ci_u32 s2, s35, s27
	s_mul_i32 s30, s29, s31
	s_add_co_ci_u32 s31, s28, 0
	s_wait_alu 0xfffe
	s_add_nc_u64 s[30:31], s[2:3], s[30:31]
	s_wait_alu 0xfffe
	v_add_co_u32 v4, s2, v4, s30
	s_delay_alu instid0(VALU_DEP_1) | instskip(SKIP_1) | instid1(VALU_DEP_1)
	s_cmp_lg_u32 s2, 0
	s_add_co_ci_u32 s2, s29, s31
	v_mul_hi_u32 v13, v5, v4
	s_wait_alu 0xfffe
	v_mad_co_u64_u32 v[7:8], null, v5, s2, 0
	v_mad_co_u64_u32 v[9:10], null, v6, v4, 0
	;; [unrolled: 1-line block ×3, first 2 shown]
	s_delay_alu instid0(VALU_DEP_3) | instskip(SKIP_1) | instid1(VALU_DEP_4)
	v_add_co_u32 v4, vcc_lo, v13, v7
	s_wait_alu 0xfffd
	v_add_co_ci_u32_e32 v7, vcc_lo, 0, v8, vcc_lo
	s_delay_alu instid0(VALU_DEP_2) | instskip(SKIP_1) | instid1(VALU_DEP_2)
	v_add_co_u32 v4, vcc_lo, v4, v9
	s_wait_alu 0xfffd
	v_add_co_ci_u32_e32 v4, vcc_lo, v7, v10, vcc_lo
	s_wait_alu 0xfffd
	v_add_co_ci_u32_e32 v7, vcc_lo, 0, v12, vcc_lo
	s_delay_alu instid0(VALU_DEP_2) | instskip(SKIP_1) | instid1(VALU_DEP_2)
	v_add_co_u32 v4, vcc_lo, v4, v11
	s_wait_alu 0xfffd
	v_add_co_ci_u32_e32 v9, vcc_lo, 0, v7, vcc_lo
	s_delay_alu instid0(VALU_DEP_2) | instskip(SKIP_1) | instid1(VALU_DEP_3)
	v_mul_lo_u32 v10, s25, v4
	v_mad_co_u64_u32 v[7:8], null, s24, v4, 0
	v_mul_lo_u32 v11, s24, v9
	s_delay_alu instid0(VALU_DEP_2) | instskip(NEXT) | instid1(VALU_DEP_2)
	v_sub_co_u32 v7, vcc_lo, v5, v7
	v_add3_u32 v8, v8, v11, v10
	s_delay_alu instid0(VALU_DEP_1) | instskip(SKIP_1) | instid1(VALU_DEP_1)
	v_sub_nc_u32_e32 v10, v6, v8
	s_wait_alu 0xfffd
	v_subrev_co_ci_u32_e64 v10, s2, s25, v10, vcc_lo
	v_add_co_u32 v11, s2, v4, 2
	s_wait_alu 0xf1ff
	v_add_co_ci_u32_e64 v12, s2, 0, v9, s2
	v_sub_co_u32 v13, s2, v7, s24
	v_sub_co_ci_u32_e32 v8, vcc_lo, v6, v8, vcc_lo
	s_wait_alu 0xf1ff
	v_subrev_co_ci_u32_e64 v10, s2, 0, v10, s2
	s_delay_alu instid0(VALU_DEP_3) | instskip(NEXT) | instid1(VALU_DEP_3)
	v_cmp_le_u32_e32 vcc_lo, s24, v13
	v_cmp_eq_u32_e64 s2, s25, v8
	s_wait_alu 0xfffd
	v_cndmask_b32_e64 v13, 0, -1, vcc_lo
	v_cmp_le_u32_e32 vcc_lo, s25, v10
	s_wait_alu 0xfffd
	v_cndmask_b32_e64 v14, 0, -1, vcc_lo
	v_cmp_le_u32_e32 vcc_lo, s24, v7
	;; [unrolled: 3-line block ×3, first 2 shown]
	s_wait_alu 0xfffd
	v_cndmask_b32_e64 v15, 0, -1, vcc_lo
	v_cmp_eq_u32_e32 vcc_lo, s25, v10
	s_wait_alu 0xf1ff
	s_delay_alu instid0(VALU_DEP_2)
	v_cndmask_b32_e64 v7, v15, v7, s2
	s_wait_alu 0xfffd
	v_cndmask_b32_e32 v10, v14, v13, vcc_lo
	v_add_co_u32 v13, vcc_lo, v4, 1
	s_wait_alu 0xfffd
	v_add_co_ci_u32_e32 v14, vcc_lo, 0, v9, vcc_lo
	s_delay_alu instid0(VALU_DEP_3) | instskip(SKIP_1) | instid1(VALU_DEP_2)
	v_cmp_ne_u32_e32 vcc_lo, 0, v10
	s_wait_alu 0xfffd
	v_cndmask_b32_e32 v8, v14, v12, vcc_lo
	v_cndmask_b32_e32 v10, v13, v11, vcc_lo
	v_cmp_ne_u32_e32 vcc_lo, 0, v7
	s_wait_alu 0xfffd
	s_delay_alu instid0(VALU_DEP_2)
	v_dual_cndmask_b32 v45, v9, v8 :: v_dual_cndmask_b32 v44, v4, v10
.LBB0_4:                                ;   in Loop: Header=BB0_2 Depth=1
	s_wait_alu 0xfffe
	s_and_not1_saveexec_b32 s2, s26
	s_cbranch_execz .LBB0_6
; %bb.5:                                ;   in Loop: Header=BB0_2 Depth=1
	v_cvt_f32_u32_e32 v4, s24
	s_sub_co_i32 s26, 0, s24
	v_mov_b32_e32 v45, v3
	s_delay_alu instid0(VALU_DEP_2) | instskip(NEXT) | instid1(TRANS32_DEP_1)
	v_rcp_iflag_f32_e32 v4, v4
	v_mul_f32_e32 v4, 0x4f7ffffe, v4
	s_delay_alu instid0(VALU_DEP_1) | instskip(SKIP_1) | instid1(VALU_DEP_1)
	v_cvt_u32_f32_e32 v4, v4
	s_wait_alu 0xfffe
	v_mul_lo_u32 v7, s26, v4
	s_delay_alu instid0(VALU_DEP_1) | instskip(NEXT) | instid1(VALU_DEP_1)
	v_mul_hi_u32 v7, v4, v7
	v_add_nc_u32_e32 v4, v4, v7
	s_delay_alu instid0(VALU_DEP_1) | instskip(NEXT) | instid1(VALU_DEP_1)
	v_mul_hi_u32 v4, v5, v4
	v_mul_lo_u32 v7, v4, s24
	v_add_nc_u32_e32 v8, 1, v4
	s_delay_alu instid0(VALU_DEP_2) | instskip(NEXT) | instid1(VALU_DEP_1)
	v_sub_nc_u32_e32 v7, v5, v7
	v_subrev_nc_u32_e32 v9, s24, v7
	v_cmp_le_u32_e32 vcc_lo, s24, v7
	s_wait_alu 0xfffd
	s_delay_alu instid0(VALU_DEP_2) | instskip(NEXT) | instid1(VALU_DEP_1)
	v_dual_cndmask_b32 v7, v7, v9 :: v_dual_cndmask_b32 v4, v4, v8
	v_cmp_le_u32_e32 vcc_lo, s24, v7
	s_delay_alu instid0(VALU_DEP_2) | instskip(SKIP_1) | instid1(VALU_DEP_1)
	v_add_nc_u32_e32 v8, 1, v4
	s_wait_alu 0xfffd
	v_cndmask_b32_e32 v44, v4, v8, vcc_lo
.LBB0_6:                                ;   in Loop: Header=BB0_2 Depth=1
	s_wait_alu 0xfffe
	s_or_b32 exec_lo, exec_lo, s2
	v_mul_lo_u32 v4, v45, s24
	s_delay_alu instid0(VALU_DEP_2)
	v_mul_lo_u32 v9, v44, s25
	s_load_b64 s[26:27], s[18:19], 0x0
	v_mad_co_u64_u32 v[7:8], null, v44, s24, 0
	s_load_b64 s[24:25], s[16:17], 0x0
	s_add_nc_u64 s[20:21], s[20:21], 1
	s_add_nc_u64 s[16:17], s[16:17], 8
	s_wait_alu 0xfffe
	v_cmp_ge_u64_e64 s2, s[20:21], s[10:11]
	s_add_nc_u64 s[18:19], s[18:19], 8
	s_add_nc_u64 s[22:23], s[22:23], 8
	v_add3_u32 v4, v8, v9, v4
	v_sub_co_u32 v5, vcc_lo, v5, v7
	s_wait_alu 0xfffd
	s_delay_alu instid0(VALU_DEP_2) | instskip(SKIP_2) | instid1(VALU_DEP_1)
	v_sub_co_ci_u32_e32 v4, vcc_lo, v6, v4, vcc_lo
	s_and_b32 vcc_lo, exec_lo, s2
	s_wait_kmcnt 0x0
	v_mul_lo_u32 v6, s26, v4
	v_mul_lo_u32 v7, s27, v5
	v_mad_co_u64_u32 v[1:2], null, s26, v5, v[1:2]
	v_mul_lo_u32 v4, s24, v4
	v_mul_lo_u32 v8, s25, v5
	v_mad_co_u64_u32 v[40:41], null, s24, v5, v[40:41]
	s_delay_alu instid0(VALU_DEP_4) | instskip(NEXT) | instid1(VALU_DEP_2)
	v_add3_u32 v2, v7, v2, v6
	v_add3_u32 v41, v8, v41, v4
	s_wait_alu 0xfffe
	s_cbranch_vccnz .LBB0_9
; %bb.7:                                ;   in Loop: Header=BB0_2 Depth=1
	v_dual_mov_b32 v5, v44 :: v_dual_mov_b32 v6, v45
	s_branch .LBB0_2
.LBB0_8:
	v_dual_mov_b32 v41, v2 :: v_dual_mov_b32 v40, v1
	v_dual_mov_b32 v45, v6 :: v_dual_mov_b32 v44, v5
.LBB0_9:
	s_load_b64 s[0:1], s[0:1], 0x28
	v_mul_hi_u32 v3, 0x147ae15, v0
	s_lshl_b64 s[10:11], s[10:11], 3
                                        ; implicit-def: $vgpr42
	s_wait_alu 0xfffe
	s_add_nc_u64 s[2:3], s[14:15], s[10:11]
	s_wait_kmcnt 0x0
	v_cmp_gt_u64_e32 vcc_lo, s[0:1], v[44:45]
	v_cmp_le_u64_e64 s0, s[0:1], v[44:45]
	s_delay_alu instid0(VALU_DEP_1)
	s_and_saveexec_b32 s1, s0
	s_wait_alu 0xfffe
	s_xor_b32 s0, exec_lo, s1
; %bb.10:
	v_mul_u32_u24_e32 v1, 0xc8, v3
                                        ; implicit-def: $vgpr3
	s_delay_alu instid0(VALU_DEP_1)
	v_sub_nc_u32_e32 v42, v0, v1
                                        ; implicit-def: $vgpr0
                                        ; implicit-def: $vgpr1_vgpr2
; %bb.11:
	s_wait_alu 0xfffe
	s_or_saveexec_b32 s1, s0
	s_load_b64 s[2:3], s[2:3], 0x0
	s_xor_b32 exec_lo, exec_lo, s1
	s_cbranch_execz .LBB0_15
; %bb.12:
	s_add_nc_u64 s[10:11], s[12:13], s[10:11]
	v_lshlrev_b64_e32 v[1:2], 4, v[1:2]
	s_load_b64 s[10:11], s[10:11], 0x0
	s_wait_kmcnt 0x0
	v_mul_lo_u32 v6, s11, v44
	v_mul_lo_u32 v7, s10, v45
	v_mad_co_u64_u32 v[4:5], null, s10, v44, 0
	s_delay_alu instid0(VALU_DEP_1) | instskip(SKIP_1) | instid1(VALU_DEP_2)
	v_add3_u32 v5, v5, v7, v6
	v_mul_u32_u24_e32 v6, 0xc8, v3
	v_lshlrev_b64_e32 v[3:4], 4, v[4:5]
	s_delay_alu instid0(VALU_DEP_2) | instskip(NEXT) | instid1(VALU_DEP_1)
	v_sub_nc_u32_e32 v42, v0, v6
	v_lshlrev_b32_e32 v43, 4, v42
	s_delay_alu instid0(VALU_DEP_3) | instskip(SKIP_1) | instid1(VALU_DEP_4)
	v_add_co_u32 v0, s0, s4, v3
	s_wait_alu 0xf1ff
	v_add_co_ci_u32_e64 v3, s0, s5, v4, s0
	s_delay_alu instid0(VALU_DEP_2) | instskip(SKIP_1) | instid1(VALU_DEP_2)
	v_add_co_u32 v0, s0, v0, v1
	s_wait_alu 0xf1ff
	v_add_co_ci_u32_e64 v1, s0, v3, v2, s0
	s_delay_alu instid0(VALU_DEP_2) | instskip(SKIP_1) | instid1(VALU_DEP_2)
	v_add_co_u32 v38, s0, v0, v43
	s_wait_alu 0xf1ff
	v_add_co_ci_u32_e64 v39, s0, 0, v1, s0
	s_clause 0x13
	global_load_b128 v[2:5], v[38:39], off offset:3200
	global_load_b128 v[6:9], v[38:39], off offset:6400
	;; [unrolled: 1-line block ×18, first 2 shown]
	global_load_b128 v[82:85], v[38:39], off
	global_load_b128 v[86:89], v[38:39], off offset:60800
	v_add_nc_u32_e32 v38, 0, v43
	v_cmp_eq_u32_e64 s0, 0xc7, v42
	s_wait_loadcnt 0x13
	ds_store_b128 v38, v[2:5] offset:3200
	s_wait_loadcnt 0x12
	ds_store_b128 v38, v[6:9] offset:6400
	;; [unrolled: 2-line block ×18, first 2 shown]
	s_wait_loadcnt 0x1
	ds_store_b128 v38, v[82:85]
	s_wait_loadcnt 0x0
	ds_store_b128 v38, v[86:89] offset:60800
	s_and_saveexec_b32 s4, s0
	s_cbranch_execz .LBB0_14
; %bb.13:
	global_load_b128 v[0:3], v[0:1], off offset:64000
	v_mov_b32_e32 v4, 0
	v_mov_b32_e32 v42, 0xc7
	s_wait_loadcnt 0x0
	ds_store_b128 v4, v[0:3] offset:64000
.LBB0_14:
	s_wait_alu 0xfffe
	s_or_b32 exec_lo, exec_lo, s4
.LBB0_15:
	s_delay_alu instid0(SALU_CYCLE_1)
	s_or_b32 exec_lo, exec_lo, s1
	v_lshlrev_b32_e32 v0, 4, v42
	global_wb scope:SCOPE_SE
	s_wait_dscnt 0x0
	s_wait_kmcnt 0x0
	s_barrier_signal -1
	s_barrier_wait -1
	global_inv scope:SCOPE_SE
	v_add_nc_u32_e32 v160, 0, v0
	v_sub_nc_u32_e32 v10, 0, v0
	s_mov_b32 s1, exec_lo
                                        ; implicit-def: $vgpr4_vgpr5
	ds_load_b64 v[6:7], v160
	ds_load_b64 v[8:9], v10 offset:64000
	s_wait_dscnt 0x0
	v_add_f64_e32 v[0:1], v[6:7], v[8:9]
	v_add_f64_e64 v[2:3], v[6:7], -v[8:9]
	v_cmpx_ne_u32_e32 0, v42
	s_wait_alu 0xfffe
	s_xor_b32 s1, exec_lo, s1
	s_cbranch_execz .LBB0_17
; %bb.16:
	v_mov_b32_e32 v43, 0
	v_add_f64_e32 v[13:14], v[6:7], v[8:9]
	v_add_f64_e64 v[15:16], v[6:7], -v[8:9]
	s_delay_alu instid0(VALU_DEP_3) | instskip(NEXT) | instid1(VALU_DEP_1)
	v_lshlrev_b64_e32 v[0:1], 4, v[42:43]
	v_add_co_u32 v0, s0, s8, v0
	s_wait_alu 0xf1ff
	s_delay_alu instid0(VALU_DEP_2)
	v_add_co_ci_u32_e64 v1, s0, s9, v1, s0
	global_load_b128 v[2:5], v[0:1], off offset:63840
	ds_load_b64 v[0:1], v10 offset:64008
	ds_load_b64 v[11:12], v160 offset:8
	s_wait_dscnt 0x0
	v_add_f64_e32 v[6:7], v[0:1], v[11:12]
	v_add_f64_e64 v[0:1], v[11:12], -v[0:1]
	s_wait_loadcnt 0x0
	v_fma_f64 v[8:9], v[15:16], v[4:5], v[13:14]
	v_fma_f64 v[11:12], -v[15:16], v[4:5], v[13:14]
	s_delay_alu instid0(VALU_DEP_3) | instskip(SKIP_1) | instid1(VALU_DEP_4)
	v_fma_f64 v[13:14], v[6:7], v[4:5], -v[0:1]
	v_fma_f64 v[4:5], v[6:7], v[4:5], v[0:1]
	v_fma_f64 v[0:1], -v[6:7], v[2:3], v[8:9]
	s_delay_alu instid0(VALU_DEP_4) | instskip(NEXT) | instid1(VALU_DEP_4)
	v_fma_f64 v[6:7], v[6:7], v[2:3], v[11:12]
	v_fma_f64 v[8:9], v[15:16], v[2:3], v[13:14]
	s_delay_alu instid0(VALU_DEP_4)
	v_fma_f64 v[2:3], v[15:16], v[2:3], v[4:5]
	v_dual_mov_b32 v4, v42 :: v_dual_mov_b32 v5, v43
	ds_store_b128 v10, v[6:9] offset:64000
.LBB0_17:
	s_wait_alu 0xfffe
	s_and_not1_saveexec_b32 s0, s1
	s_cbranch_execz .LBB0_19
; %bb.18:
	v_mov_b32_e32 v8, 0
	ds_load_b128 v[4:7], v8 offset:32000
	s_wait_dscnt 0x0
	v_add_f64_e32 v[11:12], v[4:5], v[4:5]
	v_mul_f64_e32 v[13:14], -2.0, v[6:7]
	v_mov_b32_e32 v4, 0
	v_mov_b32_e32 v5, 0
	ds_store_b128 v8, v[11:14] offset:32000
.LBB0_19:
	s_wait_alu 0xfffe
	s_or_b32 exec_lo, exec_lo, s0
	v_lshlrev_b64_e32 v[4:5], 4, v[4:5]
	s_add_nc_u64 s[0:1], s[8:9], 0xf960
	s_mov_b32 s4, 0x134454ff
	s_mov_b32 s5, 0x3fee6f0e
	;; [unrolled: 1-line block ×3, first 2 shown]
	s_wait_alu 0xfffe
	s_mov_b32 s10, s4
	v_add_co_u32 v4, s0, s0, v4
	s_wait_alu 0xf1ff
	v_add_co_ci_u32_e64 v5, s0, s1, v5, s0
	s_mov_b32 s12, 0x4755a5e
	s_mov_b32 s13, 0x3fe2cf23
	;; [unrolled: 1-line block ×3, first 2 shown]
	s_clause 0x1
	global_load_b128 v[6:9], v[4:5], off offset:3200
	global_load_b128 v[11:14], v[4:5], off offset:6400
	ds_store_b128 v160, v[0:3]
	ds_load_b128 v[0:3], v160 offset:3200
	ds_load_b128 v[15:18], v10 offset:60800
	global_load_b128 v[19:22], v[4:5], off offset:9600
	s_mov_b32 s14, s12
	s_mov_b32 s16, 0x372fe950
	;; [unrolled: 1-line block ×5, first 2 shown]
	v_and_b32_e32 v43, 0xff, v42
	v_cmp_gt_u32_e64 s0, 0x64, v42
	s_delay_alu instid0(VALU_DEP_2) | instskip(NEXT) | instid1(VALU_DEP_1)
	v_mul_lo_u16 v43, 0xcd, v43
	v_lshrrev_b16 v43, 11, v43
	s_wait_dscnt 0x0
	v_add_f64_e32 v[23:24], v[0:1], v[15:16]
	v_add_f64_e32 v[25:26], v[17:18], v[2:3]
	v_add_f64_e64 v[27:28], v[0:1], -v[15:16]
	v_add_f64_e64 v[0:1], v[2:3], -v[17:18]
	s_wait_loadcnt 0x2
	s_delay_alu instid0(VALU_DEP_2) | instskip(NEXT) | instid1(VALU_DEP_2)
	v_fma_f64 v[2:3], v[27:28], v[8:9], v[23:24]
	v_fma_f64 v[15:16], v[25:26], v[8:9], v[0:1]
	v_fma_f64 v[17:18], -v[27:28], v[8:9], v[23:24]
	v_fma_f64 v[8:9], v[25:26], v[8:9], -v[0:1]
	s_delay_alu instid0(VALU_DEP_4) | instskip(NEXT) | instid1(VALU_DEP_4)
	v_fma_f64 v[0:1], -v[25:26], v[6:7], v[2:3]
	v_fma_f64 v[2:3], v[27:28], v[6:7], v[15:16]
	s_delay_alu instid0(VALU_DEP_4) | instskip(NEXT) | instid1(VALU_DEP_4)
	v_fma_f64 v[15:16], v[25:26], v[6:7], v[17:18]
	v_fma_f64 v[17:18], v[27:28], v[6:7], v[8:9]
	ds_store_b128 v160, v[0:3] offset:3200
	ds_store_b128 v10, v[15:18] offset:60800
	ds_load_b128 v[0:3], v160 offset:6400
	ds_load_b128 v[6:9], v10 offset:57600
	global_load_b128 v[15:18], v[4:5], off offset:12800
	s_wait_dscnt 0x0
	v_add_f64_e32 v[23:24], v[0:1], v[6:7]
	v_add_f64_e32 v[25:26], v[8:9], v[2:3]
	v_add_f64_e64 v[27:28], v[0:1], -v[6:7]
	v_add_f64_e64 v[0:1], v[2:3], -v[8:9]
	s_wait_loadcnt 0x2
	s_delay_alu instid0(VALU_DEP_2) | instskip(NEXT) | instid1(VALU_DEP_2)
	v_fma_f64 v[2:3], v[27:28], v[13:14], v[23:24]
	v_fma_f64 v[6:7], v[25:26], v[13:14], v[0:1]
	v_fma_f64 v[8:9], -v[27:28], v[13:14], v[23:24]
	v_fma_f64 v[13:14], v[25:26], v[13:14], -v[0:1]
	s_delay_alu instid0(VALU_DEP_4) | instskip(NEXT) | instid1(VALU_DEP_4)
	v_fma_f64 v[0:1], -v[25:26], v[11:12], v[2:3]
	v_fma_f64 v[2:3], v[27:28], v[11:12], v[6:7]
	s_delay_alu instid0(VALU_DEP_4) | instskip(NEXT) | instid1(VALU_DEP_4)
	v_fma_f64 v[6:7], v[25:26], v[11:12], v[8:9]
	v_fma_f64 v[8:9], v[27:28], v[11:12], v[13:14]
	ds_store_b128 v160, v[0:3] offset:6400
	ds_store_b128 v10, v[6:9] offset:57600
	ds_load_b128 v[0:3], v160 offset:9600
	ds_load_b128 v[6:9], v10 offset:54400
	global_load_b128 v[11:14], v[4:5], off offset:16000
	;; [unrolled: 22-line block ×6, first 2 shown]
	s_wait_dscnt 0x0
	v_add_f64_e32 v[4:5], v[0:1], v[6:7]
	v_add_f64_e32 v[23:24], v[8:9], v[2:3]
	v_add_f64_e64 v[6:7], v[0:1], -v[6:7]
	v_add_f64_e64 v[0:1], v[2:3], -v[8:9]
	s_wait_loadcnt 0x2
	s_delay_alu instid0(VALU_DEP_2) | instskip(NEXT) | instid1(VALU_DEP_2)
	v_fma_f64 v[2:3], v[6:7], v[17:18], v[4:5]
	v_fma_f64 v[8:9], v[23:24], v[17:18], v[0:1]
	v_fma_f64 v[4:5], -v[6:7], v[17:18], v[4:5]
	v_fma_f64 v[17:18], v[23:24], v[17:18], -v[0:1]
	s_delay_alu instid0(VALU_DEP_4) | instskip(NEXT) | instid1(VALU_DEP_4)
	v_fma_f64 v[0:1], -v[23:24], v[15:16], v[2:3]
	v_fma_f64 v[2:3], v[6:7], v[15:16], v[8:9]
	s_delay_alu instid0(VALU_DEP_4) | instskip(NEXT) | instid1(VALU_DEP_4)
	v_fma_f64 v[4:5], v[23:24], v[15:16], v[4:5]
	v_fma_f64 v[6:7], v[6:7], v[15:16], v[17:18]
	ds_store_b128 v160, v[0:3] offset:22400
	ds_store_b128 v10, v[4:7] offset:41600
	ds_load_b128 v[0:3], v160 offset:25600
	ds_load_b128 v[4:7], v10 offset:38400
	s_wait_dscnt 0x0
	v_add_f64_e32 v[8:9], v[0:1], v[4:5]
	v_add_f64_e32 v[15:16], v[6:7], v[2:3]
	v_add_f64_e64 v[17:18], v[0:1], -v[4:5]
	v_add_f64_e64 v[0:1], v[2:3], -v[6:7]
	s_wait_loadcnt 0x1
	s_delay_alu instid0(VALU_DEP_2) | instskip(NEXT) | instid1(VALU_DEP_2)
	v_fma_f64 v[2:3], v[17:18], v[13:14], v[8:9]
	v_fma_f64 v[4:5], v[15:16], v[13:14], v[0:1]
	v_fma_f64 v[6:7], -v[17:18], v[13:14], v[8:9]
	v_fma_f64 v[8:9], v[15:16], v[13:14], -v[0:1]
	s_delay_alu instid0(VALU_DEP_4) | instskip(NEXT) | instid1(VALU_DEP_4)
	v_fma_f64 v[0:1], -v[15:16], v[11:12], v[2:3]
	v_fma_f64 v[2:3], v[17:18], v[11:12], v[4:5]
	s_delay_alu instid0(VALU_DEP_4) | instskip(NEXT) | instid1(VALU_DEP_4)
	v_fma_f64 v[4:5], v[15:16], v[11:12], v[6:7]
	v_fma_f64 v[6:7], v[17:18], v[11:12], v[8:9]
	ds_store_b128 v160, v[0:3] offset:25600
	ds_store_b128 v10, v[4:7] offset:38400
	ds_load_b128 v[0:3], v160 offset:28800
	ds_load_b128 v[4:7], v10 offset:35200
	s_wait_dscnt 0x0
	v_add_f64_e32 v[8:9], v[0:1], v[4:5]
	v_add_f64_e32 v[11:12], v[6:7], v[2:3]
	v_add_f64_e64 v[13:14], v[0:1], -v[4:5]
	v_add_f64_e64 v[0:1], v[2:3], -v[6:7]
	s_wait_loadcnt 0x0
	s_delay_alu instid0(VALU_DEP_2) | instskip(NEXT) | instid1(VALU_DEP_2)
	v_fma_f64 v[2:3], v[13:14], v[21:22], v[8:9]
	v_fma_f64 v[4:5], v[11:12], v[21:22], v[0:1]
	v_fma_f64 v[6:7], -v[13:14], v[21:22], v[8:9]
	v_fma_f64 v[8:9], v[11:12], v[21:22], -v[0:1]
	s_delay_alu instid0(VALU_DEP_4) | instskip(NEXT) | instid1(VALU_DEP_4)
	v_fma_f64 v[0:1], -v[11:12], v[19:20], v[2:3]
	v_fma_f64 v[2:3], v[13:14], v[19:20], v[4:5]
	s_delay_alu instid0(VALU_DEP_4) | instskip(NEXT) | instid1(VALU_DEP_4)
	v_fma_f64 v[4:5], v[11:12], v[19:20], v[6:7]
	v_fma_f64 v[6:7], v[13:14], v[19:20], v[8:9]
	ds_store_b128 v160, v[0:3] offset:28800
	ds_store_b128 v10, v[4:7] offset:35200
	global_wb scope:SCOPE_SE
	s_wait_dscnt 0x0
	s_barrier_signal -1
	s_barrier_wait -1
	global_inv scope:SCOPE_SE
	global_wb scope:SCOPE_SE
	s_barrier_signal -1
	s_barrier_wait -1
	global_inv scope:SCOPE_SE
	ds_load_b128 v[32:35], v160
	ds_load_b128 v[36:39], v160 offset:12800
	ds_load_b128 v[56:59], v160 offset:6400
	;; [unrolled: 1-line block ×19, first 2 shown]
	global_wb scope:SCOPE_SE
	s_wait_dscnt 0x0
	v_add_f64_e32 v[72:73], v[32:33], v[36:37]
	v_add_f64_e32 v[76:77], v[34:35], v[38:39]
	;; [unrolled: 1-line block ×10, first 2 shown]
	v_add_f64_e64 v[124:125], v[60:61], -v[36:37]
	v_add_f64_e64 v[126:127], v[38:39], -v[62:63]
	v_add_f64_e32 v[128:129], v[88:89], v[24:25]
	v_add_f64_e32 v[110:111], v[50:51], v[8:9]
	;; [unrolled: 1-line block ×6, first 2 shown]
	v_add_f64_e64 v[136:137], v[62:63], -v[38:39]
	v_add_f64_e64 v[138:139], v[12:13], -v[0:1]
	;; [unrolled: 1-line block ×5, first 2 shown]
	v_add_f64_e32 v[158:159], v[112:113], v[28:29]
	v_add_f64_e32 v[161:162], v[104:105], v[22:23]
	;; [unrolled: 1-line block ×4, first 2 shown]
	v_add_f64_e64 v[116:117], v[36:37], -v[60:61]
	v_add_f64_e64 v[118:119], v[0:1], -v[12:13]
	;; [unrolled: 1-line block ×7, first 2 shown]
	v_add_f64_e32 v[167:168], v[92:93], v[68:69]
	v_add_f64_e32 v[171:172], v[98:99], v[112:113]
	v_add_f64_e64 v[175:176], v[8:9], -v[16:17]
	v_add_f64_e64 v[154:155], v[50:51], -v[8:9]
	v_add_f64_e32 v[169:170], v[94:95], v[70:71]
	v_add_f64_e32 v[173:174], v[100:101], v[114:115]
	v_add_f64_e64 v[46:47], v[38:39], -v[2:3]
	v_add_f64_e64 v[48:49], v[62:63], -v[14:15]
	;; [unrolled: 1-line block ×5, first 2 shown]
	v_fma_f64 v[185:186], v[108:109], -0.5, v[56:57]
	v_fma_f64 v[189:190], v[120:121], -0.5, v[58:59]
	;; [unrolled: 1-line block ×3, first 2 shown]
	v_add_f64_e32 v[74:75], v[72:73], v[60:61]
	v_add_f64_e32 v[76:77], v[76:77], v[62:63]
	;; [unrolled: 1-line block ×3, first 2 shown]
	v_fma_f64 v[187:188], v[110:111], -0.5, v[56:57]
	v_fma_f64 v[191:192], v[122:123], -0.5, v[58:59]
	v_add_f64_e64 v[110:111], v[114:115], -v[30:31]
	v_add_f64_e32 v[82:83], v[82:83], v[66:67]
	v_add_f64_e64 v[179:180], v[10:11], -v[18:19]
	v_fma_f64 v[84:85], v[84:85], -0.5, v[32:33]
	v_fma_f64 v[78:79], v[86:87], -0.5, v[32:33]
	;; [unrolled: 1-line block ×3, first 2 shown]
	v_add_f64_e64 v[181:182], v[68:69], -v[88:89]
	v_add_f64_e64 v[183:184], v[88:89], -v[68:69]
	;; [unrolled: 1-line block ×4, first 2 shown]
	v_fma_f64 v[86:87], v[128:129], -0.5, v[92:93]
	v_fma_f64 v[68:69], v[130:131], -0.5, v[92:93]
	v_fma_f64 v[58:59], v[132:133], -0.5, v[94:95]
	v_fma_f64 v[66:67], v[134:135], -0.5, v[94:95]
	v_add_f64_e64 v[106:107], v[104:105], -v[22:23]
	v_fma_f64 v[158:159], v[158:159], -0.5, v[98:99]
	v_fma_f64 v[120:121], v[161:162], -0.5, v[100:101]
	;; [unrolled: 1-line block ×3, first 2 shown]
	v_add_f64_e64 v[128:129], v[112:113], -v[102:103]
	v_add_f64_e64 v[130:131], v[102:103], -v[112:113]
	;; [unrolled: 1-line block ×4, first 2 shown]
	v_add_f64_e32 v[62:63], v[124:125], v[138:139]
	v_add_f64_e32 v[56:57], v[126:127], v[140:141]
	v_add_f64_e64 v[126:127], v[6:7], -v[26:27]
	v_add_f64_e32 v[60:61], v[136:137], v[142:143]
	v_add_f64_e64 v[136:137], v[28:29], -v[20:21]
	v_add_f64_e64 v[138:139], v[20:21], -v[28:29]
	;; [unrolled: 1-line block ×3, first 2 shown]
	v_fma_f64 v[72:73], v[96:97], -0.5, v[34:35]
	v_fma_f64 v[140:141], v[144:145], s[4:5], v[185:186]
	s_wait_alu 0xfffe
	v_fma_f64 v[142:143], v[144:145], s[10:11], v[185:186]
	v_add_f64_e64 v[96:97], v[90:91], -v[70:71]
	v_add_f64_e32 v[70:71], v[116:117], v[118:119]
	v_add_f64_e32 v[118:119], v[148:149], v[177:178]
	v_add_f64_e64 v[34:35], v[88:89], -v[24:25]
	v_fma_f64 v[148:149], v[165:166], s[4:5], v[187:188]
	v_add_f64_e32 v[100:101], v[167:168], v[88:89]
	v_add_f64_e64 v[108:109], v[114:115], -v[104:105]
	v_add_f64_e32 v[88:89], v[171:172], v[102:103]
	v_add_f64_e64 v[122:123], v[104:105], -v[114:115]
	v_add_f64_e64 v[112:113], v[112:113], -v[28:29]
	;; [unrolled: 1-line block ×4, first 2 shown]
	v_add_f64_e32 v[114:115], v[146:147], v[175:176]
	v_fma_f64 v[146:147], v[165:166], s[10:11], v[187:188]
	v_fma_f64 v[163:164], v[54:55], s[4:5], v[191:192]
	;; [unrolled: 1-line block ×4, first 2 shown]
	v_add_f64_e64 v[52:53], v[90:91], -v[26:27]
	v_add_f64_e32 v[92:93], v[169:170], v[90:91]
	v_add_f64_e32 v[90:91], v[173:174], v[104:105]
	v_fma_f64 v[173:174], v[110:111], s[4:5], v[156:157]
	v_add_f64_e32 v[116:117], v[150:151], v[179:180]
	v_add_f64_e64 v[169:170], v[22:23], -v[30:31]
	v_add_f64_e64 v[132:133], v[26:27], -v[6:7]
	v_add_f64_e64 v[36:37], v[36:37], -v[0:1]
	v_add_f64_e32 v[12:13], v[74:75], v[12:13]
	v_fma_f64 v[150:151], v[94:95], s[4:5], v[161:162]
	v_add_f64_e32 v[124:125], v[152:153], v[98:99]
	v_fma_f64 v[152:153], v[106:107], s[4:5], v[158:159]
	v_add_f64_e32 v[14:15], v[76:77], v[14:15]
	v_add_f64_e32 v[98:99], v[193:194], v[126:127]
	v_add_f64_e32 v[16:17], v[80:81], v[16:17]
	v_add_f64_e32 v[126:127], v[128:129], v[136:137]
	v_add_f64_e32 v[128:129], v[130:131], v[138:139]
	v_fma_f64 v[130:131], v[154:155], s[10:11], v[189:190]
	v_add_f64_e32 v[18:19], v[82:83], v[18:19]
	v_fma_f64 v[138:139], v[165:166], s[12:13], v[140:141]
	v_fma_f64 v[136:137], v[165:166], s[14:15], v[142:143]
	;; [unrolled: 1-line block ×10, first 2 shown]
	v_add_f64_e32 v[24:25], v[100:101], v[24:25]
	v_fma_f64 v[100:101], v[38:39], s[4:5], v[64:65]
	v_add_f64_e32 v[104:105], v[181:182], v[102:103]
	v_add_f64_e32 v[102:103], v[183:184], v[134:135]
	v_add_f64_e64 v[134:135], v[30:31], -v[22:23]
	v_fma_f64 v[142:143], v[144:145], s[12:13], v[146:147]
	v_fma_f64 v[146:147], v[154:155], s[14:15], v[163:164]
	;; [unrolled: 1-line block ×8, first 2 shown]
	v_add_f64_e32 v[26:27], v[92:93], v[26:27]
	v_add_f64_e32 v[122:123], v[122:123], v[169:170]
	;; [unrolled: 1-line block ×3, first 2 shown]
	v_fma_f64 v[82:83], v[36:37], s[10:11], v[72:73]
	v_fma_f64 v[72:73], v[36:37], s[4:5], v[72:73]
	;; [unrolled: 1-line block ×5, first 2 shown]
	v_add_f64_e32 v[20:21], v[88:89], v[20:21]
	v_add_f64_e32 v[22:23], v[90:91], v[22:23]
	;; [unrolled: 1-line block ×5, first 2 shown]
	v_fma_f64 v[54:55], v[54:55], s[14:15], v[130:131]
	v_add_f64_e32 v[10:11], v[18:19], v[10:11]
	v_fma_f64 v[84:85], v[114:115], s[16:17], v[138:139]
	v_fma_f64 v[138:139], v[50:51], s[4:5], v[86:87]
	;; [unrolled: 1-line block ×12, first 2 shown]
	v_add_f64_e32 v[16:17], v[24:25], v[4:5]
	v_mul_lo_u16 v167, v43, 10
	v_add_f64_e32 v[108:109], v[108:109], v[134:135]
	v_fma_f64 v[134:135], v[118:119], s[16:17], v[142:143]
	v_fma_f64 v[130:131], v[124:125], s[16:17], v[146:147]
	;; [unrolled: 1-line block ×17, first 2 shown]
	v_add_f64_e32 v[18:19], v[26:27], v[6:7]
	v_add_f64_e32 v[20:21], v[20:21], v[28:29]
	;; [unrolled: 1-line block ×3, first 2 shown]
	v_add_f64_e64 v[4:5], v[12:13], -v[8:9]
	v_fma_f64 v[54:55], v[116:117], s[16:17], v[54:55]
	v_add_f64_e64 v[6:7], v[14:15], -v[10:11]
	v_mul_f64_e32 v[76:77], s[18:19], v[84:85]
	v_mul_f64_e32 v[78:79], s[14:15], v[84:85]
	v_fma_f64 v[146:147], v[128:129], s[16:17], v[163:164]
	v_fma_f64 v[110:111], v[128:129], s[16:17], v[110:111]
	;; [unrolled: 1-line block ×4, first 2 shown]
	v_mul_f64_e32 v[90:91], s[18:19], v[114:115]
	v_fma_f64 v[106:107], v[126:127], s[16:17], v[106:107]
	v_fma_f64 v[112:113], v[122:123], s[16:17], v[112:113]
	;; [unrolled: 1-line block ×6, first 2 shown]
	v_add_f64_e32 v[0:1], v[12:13], v[8:9]
	v_add_f64_e32 v[2:3], v[14:15], v[10:11]
	v_mul_f64_e32 v[82:83], s[10:11], v[134:135]
	v_mul_f64_e32 v[80:81], s[4:5], v[130:131]
	;; [unrolled: 1-line block ×3, first 2 shown]
	v_fma_f64 v[122:123], v[108:109], s[16:17], v[132:133]
	v_mul_f64_e32 v[88:89], s[16:17], v[124:125]
	v_mul_f64_e32 v[100:101], s[18:19], v[136:137]
	v_fma_f64 v[116:117], v[34:35], s[14:15], v[142:143]
	v_fma_f64 v[94:95], v[108:109], s[16:17], v[94:95]
	v_mul_f64_e32 v[108:109], s[18:19], v[120:121]
	v_mul_f64_e32 v[120:121], s[14:15], v[120:121]
	v_fma_f64 v[86:87], v[50:51], s[12:13], v[140:141]
	v_fma_f64 v[50:51], v[50:51], s[14:15], v[68:69]
	;; [unrolled: 1-line block ×3, first 2 shown]
	v_mul_f64_e32 v[92:93], s[4:5], v[144:145]
	v_fma_f64 v[32:33], v[32:33], s[12:13], v[66:67]
	v_fma_f64 v[34:35], v[34:35], s[12:13], v[58:59]
	v_fma_f64 v[26:27], v[56:57], s[16:17], v[74:75]
	v_fma_f64 v[56:57], v[56:57], s[16:17], v[38:39]
	v_fma_f64 v[38:39], v[60:61], s[16:17], v[36:37]
	v_add_f64_e32 v[8:9], v[16:17], v[20:21]
	v_add_f64_e32 v[10:11], v[18:19], v[22:23]
	v_add_f64_e64 v[12:13], v[16:17], -v[20:21]
	v_add_f64_e64 v[14:15], v[18:19], -v[22:23]
	v_fma_f64 v[30:31], v[54:55], s[12:13], v[76:77]
	v_fma_f64 v[48:49], v[54:55], s[18:19], v[78:79]
	v_mul_f64_e32 v[126:127], s[10:11], v[146:147]
	v_mul_f64_e32 v[58:59], s[16:17], v[110:111]
	v_fma_f64 v[54:55], v[60:61], s[16:17], v[72:73]
	v_fma_f64 v[64:65], v[104:105], s[16:17], v[64:65]
	v_add_nc_u32_e32 v161, 0xc8, v42
	v_mul_f64_e32 v[128:129], s[18:19], v[106:107]
	v_mul_f64_e32 v[66:67], s[16:17], v[112:113]
	s_barrier_signal -1
	s_barrier_wait -1
	global_inv scope:SCOPE_SE
	v_and_b32_e32 v43, 0xffff, v43
	v_fma_f64 v[72:73], v[130:131], s[16:17], v[82:83]
	v_fma_f64 v[62:63], v[134:135], s[16:17], v[80:81]
	v_fma_f64 v[36:37], v[124:125], s[4:5], -v[84:85]
	v_mul_f64_e32 v[132:133], s[18:19], v[122:123]
	v_fma_f64 v[60:61], v[118:119], s[10:11], -v[88:89]
	v_fma_f64 v[82:83], v[104:105], s[16:17], v[52:53]
	v_fma_f64 v[52:53], v[136:137], s[12:13], -v[90:91]
	v_fma_f64 v[74:75], v[114:115], s[14:15], -v[100:101]
	v_fma_f64 v[78:79], v[98:99], s[16:17], v[116:117]
	v_fma_f64 v[80:81], v[94:95], s[12:13], v[108:109]
	;; [unrolled: 1-line block ×9, first 2 shown]
	v_sub_nc_u16 v104, v42, v167
	v_mul_u32_u24_e32 v43, 0x640, v43
	s_delay_alu instid0(VALU_DEP_2)
	v_and_b32_e32 v162, 0xff, v104
	v_add_f64_e32 v[16:17], v[24:25], v[30:31]
	v_add_f64_e32 v[18:19], v[26:27], v[48:49]
	v_fma_f64 v[90:91], v[144:145], s[16:17], v[126:127]
	v_fma_f64 v[96:97], v[112:113], s[4:5], -v[58:59]
	v_add_f64_e64 v[20:21], v[24:25], -v[30:31]
	v_add_f64_e64 v[22:23], v[26:27], -v[48:49]
	v_fma_f64 v[100:101], v[122:123], s[12:13], -v[128:129]
	v_fma_f64 v[98:99], v[110:111], s[10:11], -v[66:67]
	v_add_f64_e32 v[26:27], v[54:55], v[72:73]
	v_add_f64_e32 v[24:25], v[28:29], v[62:63]
	;; [unrolled: 1-line block ×3, first 2 shown]
	v_fma_f64 v[102:103], v[106:107], s[14:15], -v[132:133]
	v_add_f64_e32 v[34:35], v[38:39], v[60:61]
	v_add_f64_e64 v[36:37], v[46:47], -v[36:37]
	v_add_f64_e32 v[46:47], v[70:71], v[52:53]
	v_add_f64_e32 v[48:49], v[56:57], v[74:75]
	v_add_f64_e64 v[28:29], v[28:29], -v[62:63]
	v_add_f64_e64 v[30:31], v[54:55], -v[72:73]
	;; [unrolled: 1-line block ×5, first 2 shown]
	v_add_f64_e32 v[54:55], v[64:65], v[80:81]
	v_add_f64_e32 v[56:57], v[78:79], v[84:85]
	v_add_f64_e64 v[58:59], v[64:65], -v[80:81]
	v_add_f64_e32 v[62:63], v[76:77], v[88:89]
	v_add_f64_e64 v[66:67], v[76:77], -v[88:89]
	v_add_f64_e64 v[60:61], v[78:79], -v[84:85]
	v_mad_u32_u24 v88, 0x90, v42, v160
	v_add_f64_e32 v[64:65], v[68:69], v[90:91]
	v_add_f64_e32 v[70:71], v[86:87], v[96:97]
	v_add_f64_e64 v[68:69], v[68:69], -v[90:91]
	v_add_f64_e64 v[78:79], v[86:87], -v[96:97]
	v_and_b32_e32 v86, 0xffff, v161
	v_add_f64_e32 v[74:75], v[82:83], v[100:101]
	v_add_f64_e32 v[72:73], v[92:93], v[98:99]
	v_add_f64_e64 v[80:81], v[92:93], -v[98:99]
	v_add_f64_e64 v[82:83], v[82:83], -v[100:101]
	v_mul_u32_u24_e32 v86, 0xcccd, v86
	v_mul_u32_u24_e32 v87, 9, v162
	s_delay_alu instid0(VALU_DEP_2) | instskip(NEXT) | instid1(VALU_DEP_2)
	v_lshrrev_b32_e32 v163, 19, v86
	v_lshlrev_b32_e32 v86, 4, v87
	v_add_f64_e32 v[76:77], v[94:95], v[102:103]
	v_add_f64_e64 v[84:85], v[94:95], -v[102:103]
	ds_store_b128 v88, v[0:3]
	ds_store_b128 v88, v[16:19] offset:16
	ds_store_b128 v88, v[24:27] offset:32
	;; [unrolled: 1-line block ×19, first 2 shown]
	global_wb scope:SCOPE_SE
	s_wait_dscnt 0x0
	s_barrier_signal -1
	s_barrier_wait -1
	global_inv scope:SCOPE_SE
	s_clause 0x2
	global_load_b128 v[0:3], v86, s[8:9] offset:16
	global_load_b128 v[4:7], v86, s[8:9] offset:32
	;; [unrolled: 1-line block ×3, first 2 shown]
	v_mul_lo_u16 v12, v163, 10
	s_delay_alu instid0(VALU_DEP_1) | instskip(NEXT) | instid1(VALU_DEP_1)
	v_sub_nc_u16 v12, v161, v12
	v_and_b32_e32 v164, 0xffff, v12
	s_clause 0x1
	global_load_b128 v[12:15], v86, s[8:9] offset:80
	global_load_b128 v[18:21], v86, s[8:9] offset:112
	v_mul_u32_u24_e32 v16, 9, v164
	s_delay_alu instid0(VALU_DEP_1)
	v_lshlrev_b32_e32 v16, 4, v16
	s_clause 0xc
	global_load_b128 v[22:25], v16, s[8:9] offset:16
	global_load_b128 v[26:29], v16, s[8:9] offset:48
	;; [unrolled: 1-line block ×4, first 2 shown]
	global_load_b128 v[46:49], v86, s[8:9]
	global_load_b128 v[50:53], v86, s[8:9] offset:64
	global_load_b128 v[54:57], v86, s[8:9] offset:96
	;; [unrolled: 1-line block ×3, first 2 shown]
	global_load_b128 v[68:71], v16, s[8:9]
	global_load_b128 v[72:75], v16, s[8:9] offset:32
	global_load_b128 v[76:79], v16, s[8:9] offset:64
	;; [unrolled: 1-line block ×4, first 2 shown]
	ds_load_b128 v[64:67], v160 offset:12800
	ds_load_b128 v[88:91], v160 offset:19200
	;; [unrolled: 1-line block ×15, first 2 shown]
	s_wait_loadcnt_dscnt 0x100d
	v_mul_f64_e32 v[38:39], v[90:91], v[6:7]
	v_mul_f64_e32 v[16:17], v[66:67], v[2:3]
	;; [unrolled: 1-line block ×4, first 2 shown]
	s_wait_loadcnt_dscnt 0xf0c
	v_mul_f64_e32 v[104:105], v[94:95], v[10:11]
	v_mul_f64_e32 v[10:11], v[92:93], v[10:11]
	s_wait_loadcnt_dscnt 0xe0b
	v_mul_f64_e32 v[112:113], v[98:99], v[14:15]
	v_mul_f64_e32 v[126:127], v[96:97], v[14:15]
	s_wait_loadcnt_dscnt 0xd09
	v_mul_f64_e32 v[128:129], v[110:111], v[20:21]
	s_wait_loadcnt_dscnt 0xc08
	v_mul_f64_e32 v[134:135], v[120:121], v[24:25]
	v_mul_f64_e32 v[24:25], v[118:119], v[24:25]
	;; [unrolled: 1-line block ×3, first 2 shown]
	s_wait_loadcnt_dscnt 0xb06
	v_mul_f64_e32 v[136:137], v[132:133], v[28:29]
	v_mul_f64_e32 v[28:29], v[130:131], v[28:29]
	v_fma_f64 v[100:101], v[64:65], v[0:1], -v[16:17]
	v_fma_f64 v[102:103], v[66:67], v[0:1], v[2:3]
	v_fma_f64 v[66:67], v[88:89], v[4:5], -v[38:39]
	v_fma_f64 v[58:59], v[90:91], v[4:5], v[6:7]
	ds_load_b128 v[88:91], v160 offset:6400
	ds_load_b128 v[169:172], v160 offset:57600
	s_wait_loadcnt_dscnt 0xa07
	v_mul_f64_e32 v[2:3], v[140:141], v[32:33]
	v_mul_f64_e32 v[32:33], v[138:139], v[32:33]
	v_fma_f64 v[104:105], v[92:93], v[8:9], -v[104:105]
	v_fma_f64 v[106:107], v[94:95], v[8:9], v[10:11]
	s_wait_loadcnt_dscnt 0x903
	v_mul_f64_e32 v[4:5], v[152:153], v[36:37]
	v_mul_f64_e32 v[8:9], v[150:151], v[36:37]
	v_fma_f64 v[14:15], v[96:97], v[12:13], -v[112:113]
	v_fma_f64 v[16:17], v[98:99], v[12:13], v[126:127]
	v_fma_f64 v[12:13], v[108:109], v[18:19], -v[128:129]
	s_wait_loadcnt_dscnt 0x702
	v_mul_f64_e32 v[10:11], v[156:157], v[52:53]
	s_wait_loadcnt 0x6
	v_mul_f64_e32 v[64:65], v[167:168], v[56:57]
	v_fma_f64 v[0:1], v[118:119], v[22:23], -v[134:135]
	v_fma_f64 v[128:129], v[120:121], v[22:23], v[24:25]
	v_mul_f64_e32 v[24:25], v[154:155], v[52:53]
	ds_load_b128 v[92:95], v160 offset:3200
	ds_load_b128 v[173:176], v160 offset:60800
	ds_load_b128 v[177:180], v160
	v_fma_f64 v[6:7], v[110:111], v[18:19], v[20:21]
	v_fma_f64 v[38:39], v[130:131], v[26:27], -v[136:137]
	s_wait_dscnt 0x4
	v_mul_f64_e32 v[36:37], v[90:91], v[48:49]
	s_wait_loadcnt_dscnt 0x503
	v_mul_f64_e32 v[96:97], v[171:172], v[62:63]
	v_mul_f64_e32 v[22:23], v[88:89], v[48:49]
	;; [unrolled: 1-line block ×4, first 2 shown]
	v_fma_f64 v[136:137], v[132:133], v[26:27], v[28:29]
	s_wait_loadcnt 0x4
	v_mul_f64_e32 v[56:57], v[116:117], v[70:71]
	v_mul_f64_e32 v[62:63], v[114:115], v[70:71]
	s_wait_loadcnt 0x3
	v_mul_f64_e32 v[70:71], v[124:125], v[74:75]
	v_mul_f64_e32 v[74:75], v[122:123], v[74:75]
	;; [unrolled: 3-line block ×3, first 2 shown]
	global_wb scope:SCOPE_SE
	s_wait_loadcnt_dscnt 0x0
	s_barrier_signal -1
	s_barrier_wait -1
	global_inv scope:SCOPE_SE
	v_mul_f64_e32 v[120:121], v[175:176], v[86:87]
	v_mul_f64_e32 v[86:87], v[173:174], v[86:87]
	v_fma_f64 v[18:19], v[138:139], v[30:31], -v[2:3]
	v_fma_f64 v[20:21], v[140:141], v[30:31], v[32:33]
	v_mul_f64_e32 v[30:31], v[144:145], v[78:79]
	v_mul_f64_e32 v[78:79], v[142:143], v[78:79]
	v_fma_f64 v[2:3], v[150:151], v[34:35], -v[4:5]
	v_fma_f64 v[4:5], v[152:153], v[34:35], v[8:9]
	v_add_f64_e32 v[138:139], v[177:178], v[100:101]
	v_fma_f64 v[110:111], v[154:155], v[50:51], -v[10:11]
	v_fma_f64 v[28:29], v[165:166], v[54:55], -v[64:65]
	v_fma_f64 v[112:113], v[156:157], v[50:51], v[24:25]
	v_add_f64_e32 v[50:51], v[106:107], v[16:17]
	v_add_f64_e64 v[150:151], v[0:1], -v[38:39]
	v_fma_f64 v[88:89], v[88:89], v[46:47], -v[36:37]
	v_fma_f64 v[8:9], v[169:170], v[60:61], -v[96:97]
	v_fma_f64 v[90:91], v[90:91], v[46:47], v[22:23]
	v_fma_f64 v[26:27], v[167:168], v[54:55], v[48:49]
	;; [unrolled: 1-line block ×3, first 2 shown]
	v_add_f64_e32 v[46:47], v[104:105], v[14:15]
	v_add_f64_e32 v[48:49], v[100:101], v[12:13]
	v_fma_f64 v[114:115], v[114:115], v[68:69], -v[56:57]
	v_fma_f64 v[108:109], v[116:117], v[68:69], v[62:63]
	v_fma_f64 v[98:99], v[122:123], v[72:73], -v[70:71]
	v_fma_f64 v[116:117], v[124:125], v[72:73], v[74:75]
	v_fma_f64 v[24:25], v[146:147], v[80:81], -v[118:119]
	v_add_f64_e32 v[52:53], v[102:103], v[6:7]
	v_add_f64_e64 v[96:97], v[102:103], -v[106:107]
	v_add_f64_e64 v[118:119], v[6:7], -v[16:17]
	;; [unrolled: 1-line block ×3, first 2 shown]
	v_fma_f64 v[22:23], v[173:174], v[84:85], -v[120:121]
	v_fma_f64 v[36:37], v[175:176], v[84:85], v[86:87]
	v_add_f64_e64 v[84:85], v[104:105], -v[100:101]
	v_add_f64_e64 v[86:87], v[14:15], -v[12:13]
	v_add_f64_e32 v[54:55], v[38:39], v[18:19]
	v_add_f64_e32 v[60:61], v[136:137], v[20:21]
	v_fma_f64 v[32:33], v[142:143], v[76:77], -v[30:31]
	v_fma_f64 v[34:35], v[144:145], v[76:77], v[78:79]
	v_fma_f64 v[30:31], v[148:149], v[80:81], v[82:83]
	v_add_f64_e32 v[56:57], v[0:1], v[2:3]
	v_add_f64_e32 v[78:79], v[128:129], v[4:5]
	v_add_f64_e64 v[80:81], v[100:101], -v[104:105]
	v_add_f64_e64 v[82:83], v[12:13], -v[14:15]
	;; [unrolled: 1-line block ×10, first 2 shown]
	v_add_f64_e32 v[167:168], v[110:111], v[28:29]
	v_add_f64_e64 v[158:159], v[128:129], -v[136:137]
	v_add_f64_e64 v[130:131], v[8:9], -v[28:29]
	;; [unrolled: 1-line block ×3, first 2 shown]
	v_add_f64_e32 v[173:174], v[66:67], v[8:9]
	v_add_f64_e64 v[142:143], v[10:11], -v[26:27]
	v_add_f64_e64 v[148:149], v[26:27], -v[10:11]
	v_add_f64_e32 v[175:176], v[112:113], v[26:27]
	v_add_f64_e64 v[165:166], v[4:5], -v[20:21]
	v_fma_f64 v[76:77], v[46:47], -0.5, v[177:178]
	v_fma_f64 v[74:75], v[48:49], -0.5, v[177:178]
	v_add_f64_e32 v[177:178], v[58:59], v[10:11]
	v_add_f64_e32 v[144:145], v[179:180], v[102:103]
	;; [unrolled: 1-line block ×3, first 2 shown]
	v_add_f64_e64 v[169:170], v[136:137], -v[128:129]
	v_add_f64_e64 v[171:172], v[20:21], -v[4:5]
	v_fma_f64 v[72:73], v[50:51], -0.5, v[179:180]
	v_fma_f64 v[68:69], v[52:53], -0.5, v[179:180]
	v_add_f64_e32 v[179:180], v[94:95], v[128:129]
	v_add_f64_e32 v[48:49], v[96:97], v[118:119]
	;; [unrolled: 1-line block ×3, first 2 shown]
	v_fma_f64 v[70:71], v[54:55], -0.5, v[92:93]
	v_fma_f64 v[62:63], v[60:61], -0.5, v[94:95]
	v_add_f64_e64 v[181:182], v[32:33], -v[98:99]
	v_add_f64_e64 v[96:97], v[116:117], -v[34:35]
	;; [unrolled: 1-line block ×3, first 2 shown]
	v_fma_f64 v[64:65], v[56:57], -0.5, v[92:93]
	v_fma_f64 v[60:61], v[78:79], -0.5, v[94:95]
	v_add_f64_e64 v[92:93], v[98:99], -v[32:33]
	v_add_f64_e64 v[94:95], v[22:23], -v[24:25]
	v_add_f64_e32 v[50:51], v[80:81], v[82:83]
	v_add_f64_e32 v[46:47], v[122:123], v[124:125]
	v_add_f64_e64 v[122:123], v[34:35], -v[116:117]
	v_add_f64_e64 v[124:125], v[30:31], -v[36:37]
	v_add_f64_e32 v[56:57], v[150:151], v[152:153]
	v_add_f64_e32 v[152:153], v[34:35], v[30:31]
	v_add_f64_e64 v[150:151], v[98:99], -v[22:23]
	v_add_f64_e32 v[54:55], v[154:155], v[156:157]
	v_add_f64_e64 v[156:157], v[66:67], -v[8:9]
	v_add_f64_e64 v[183:184], v[24:25], -v[22:23]
	v_add_f64_e32 v[78:79], v[126:127], v[130:131]
	v_add_f64_e32 v[82:83], v[132:133], v[134:135]
	;; [unrolled: 1-line block ×6, first 2 shown]
	v_add_f64_e64 v[132:133], v[112:113], -v[26:27]
	v_add_f64_e32 v[134:135], v[32:33], v[24:25]
	v_add_f64_e64 v[142:143], v[58:59], -v[10:11]
	v_fma_f64 v[140:141], v[167:168], -0.5, v[88:89]
	v_add_f64_e32 v[146:147], v[98:99], v[22:23]
	v_fma_f64 v[148:149], v[173:174], -0.5, v[88:89]
	v_fma_f64 v[154:155], v[175:176], -0.5, v[90:91]
	v_add_f64_e32 v[58:59], v[158:159], v[165:166]
	v_add_f64_e32 v[158:159], v[116:117], v[36:37]
	v_fma_f64 v[165:166], v[177:178], -0.5, v[90:91]
	v_add_f64_e64 v[167:168], v[110:111], -v[28:29]
	v_add_f64_e32 v[66:67], v[169:170], v[171:172]
	v_add_f64_e64 v[169:170], v[116:117], -v[36:37]
	v_add_f64_e32 v[144:145], v[144:145], v[106:107]
	v_add_f64_e32 v[88:89], v[96:97], v[118:119]
	v_add_f64_e64 v[96:97], v[34:35], -v[30:31]
	v_add_f64_e32 v[86:87], v[92:93], v[94:95]
	v_add_f64_e32 v[92:93], v[114:115], v[98:99]
	;; [unrolled: 1-line block ×7, first 2 shown]
	v_fma_f64 v[118:119], v[142:143], s[10:11], v[140:141]
	v_fma_f64 v[122:123], v[146:147], -0.5, v[114:115]
	v_fma_f64 v[146:147], v[134:135], -0.5, v[114:115]
	v_fma_f64 v[126:127], v[132:133], s[10:11], v[148:149]
	v_fma_f64 v[130:131], v[132:133], s[4:5], v[148:149]
	v_fma_f64 v[148:149], v[152:153], -0.5, v[108:109]
	v_fma_f64 v[134:135], v[156:157], s[10:11], v[154:155]
	v_fma_f64 v[154:155], v[156:157], s[4:5], v[154:155]
	;; [unrolled: 1-line block ×3, first 2 shown]
	v_fma_f64 v[108:109], v[158:159], -0.5, v[108:109]
	v_fma_f64 v[158:159], v[167:168], s[4:5], v[165:166]
	v_fma_f64 v[165:166], v[167:168], s[10:11], v[165:166]
	v_add_f64_e64 v[140:141], v[32:33], -v[24:25]
	v_add_f64_e32 v[32:33], v[92:93], v[32:33]
	v_add_f64_e32 v[34:35], v[94:95], v[34:35]
	;; [unrolled: 1-line block ×4, first 2 shown]
	v_fma_f64 v[114:115], v[132:133], s[14:15], v[118:119]
	v_fma_f64 v[171:172], v[96:97], s[10:11], v[122:123]
	;; [unrolled: 1-line block ×16, first 2 shown]
	v_add_f64_e32 v[142:143], v[138:139], v[104:105]
	v_add_f64_e64 v[108:109], v[102:103], -v[6:7]
	v_add_f64_e64 v[112:113], v[106:107], -v[16:17]
	;; [unrolled: 1-line block ×7, first 2 shown]
	v_add_f64_e32 v[167:168], v[120:121], v[38:39]
	v_add_f64_e64 v[38:39], v[38:39], -v[18:19]
	v_add_f64_e32 v[128:129], v[179:180], v[136:137]
	v_add_f64_e32 v[16:17], v[144:145], v[16:17]
	;; [unrolled: 1-line block ×4, first 2 shown]
	v_mov_b32_e32 v1, 0
	v_add_f64_e32 v[8:9], v[28:29], v[8:9]
	v_add_f64_e32 v[10:11], v[26:27], v[10:11]
	v_fma_f64 v[138:139], v[169:170], s[12:13], v[171:172]
	v_fma_f64 v[152:153], v[96:97], s[12:13], v[152:153]
	;; [unrolled: 1-line block ×3, first 2 shown]
	v_add_nc_u32_e32 v169, 0xffffff9c, v42
	v_fma_f64 v[96:97], v[96:97], s[14:15], v[146:147]
	v_fma_f64 v[126:127], v[82:83], s[16:17], v[126:127]
	;; [unrolled: 1-line block ×11, first 2 shown]
	v_add_f64_e32 v[14:15], v[142:143], v[14:15]
	v_fma_f64 v[92:93], v[108:109], s[4:5], v[76:77]
	v_fma_f64 v[76:77], v[108:109], s[10:11], v[76:77]
	;; [unrolled: 1-line block ×18, first 2 shown]
	v_add_f64_e32 v[18:19], v[167:168], v[18:19]
	v_add_f64_e32 v[20:21], v[128:129], v[20:21]
	;; [unrolled: 1-line block ×4, first 2 shown]
	v_fma_f64 v[138:139], v[90:91], s[16:17], v[138:139]
	v_fma_f64 v[130:131], v[86:87], s[16:17], v[152:153]
	;; [unrolled: 1-line block ×3, first 2 shown]
	v_add_f64_e32 v[24:25], v[30:31], v[36:37]
	v_fma_f64 v[86:87], v[86:87], s[16:17], v[96:97]
	v_lshrrev_b16 v158, 2, v161
	s_wait_alu 0xf1ff
	v_cndmask_b32_e64 v120, v169, v42, s0
	v_fma_f64 v[118:119], v[88:89], s[16:17], v[154:155]
	v_mul_f64_e32 v[96:97], s[4:5], v[134:135]
	s_delay_alu instid0(VALU_DEP_3)
	v_mul_i32_i24_e32 v0, 9, v120
	v_fma_f64 v[146:147], v[98:99], s[16:17], v[156:157]
	v_fma_f64 v[98:99], v[98:99], s[16:17], v[150:151]
	;; [unrolled: 1-line block ×3, first 2 shown]
	v_add_f64_e32 v[12:13], v[14:15], v[12:13]
	v_fma_f64 v[14:15], v[112:113], s[12:13], v[92:93]
	v_fma_f64 v[32:33], v[112:113], s[14:15], v[76:77]
	;; [unrolled: 1-line block ×4, first 2 shown]
	v_mul_f64_e32 v[76:77], s[12:13], v[116:117]
	v_mul_f64_e32 v[92:93], s[14:15], v[124:125]
	v_fma_f64 v[74:75], v[108:109], s[14:15], v[74:75]
	v_fma_f64 v[72:73], v[106:107], s[12:13], v[72:73]
	v_fma_f64 v[94:95], v[102:103], s[14:15], v[132:133]
	v_mul_f64_e32 v[106:107], s[10:11], v[126:127]
	v_fma_f64 v[68:69], v[102:103], s[12:13], v[68:69]
	v_mul_f64_e32 v[108:109], s[16:17], v[82:83]
	v_mul_f64_e32 v[110:111], s[16:17], v[84:85]
	v_fma_f64 v[102:103], v[104:105], s[12:13], v[142:143]
	v_fma_f64 v[70:71], v[104:105], s[14:15], v[70:71]
	v_fma_f64 v[104:105], v[100:101], s[12:13], v[121:122]
	v_mul_f64_e32 v[112:113], s[18:19], v[78:79]
	v_mul_f64_e32 v[121:122], s[18:19], v[80:81]
	v_fma_f64 v[64:65], v[100:101], s[14:15], v[64:65]
	v_fma_f64 v[100:101], v[38:39], s[14:15], v[114:115]
	;; [unrolled: 1-line block ×4, first 2 shown]
	v_mul_f64_e32 v[136:137], s[10:11], v[138:139]
	v_mul_f64_e32 v[128:129], s[14:15], v[130:131]
	v_fma_f64 v[60:61], v[165:166], s[12:13], v[60:61]
	v_mul_f64_e32 v[140:141], s[16:17], v[90:91]
	v_mul_f64_e32 v[144:145], s[18:19], v[86:87]
	v_add_f64_e32 v[18:19], v[18:19], v[2:3]
	v_add_f64_e32 v[20:21], v[20:21], v[4:5]
	v_mul_f64_e32 v[114:115], s[12:13], v[118:119]
	v_add_f64_e32 v[4:5], v[16:17], v[10:11]
	v_mul_f64_e32 v[132:133], s[4:5], v[146:147]
	v_mul_f64_e32 v[142:143], s[16:17], v[98:99]
	;; [unrolled: 1-line block ×3, first 2 shown]
	v_add_f64_e32 v[2:3], v[12:13], v[8:9]
	v_fma_f64 v[26:27], v[50:51], s[16:17], v[14:15]
	v_fma_f64 v[150:151], v[50:51], s[16:17], v[32:33]
	;; [unrolled: 1-line block ×12, first 2 shown]
	v_fma_f64 v[46:47], v[84:85], s[4:5], -v[108:109]
	v_fma_f64 v[76:77], v[82:83], s[10:11], -v[110:111]
	v_fma_f64 v[74:75], v[56:57], s[16:17], v[102:103]
	v_fma_f64 v[92:93], v[56:57], s[16:17], v[70:71]
	v_fma_f64 v[56:57], v[80:81], s[12:13], -v[112:113]
	v_fma_f64 v[78:79], v[78:79], s[14:15], -v[121:122]
	v_fma_f64 v[82:83], v[54:55], s[16:17], v[64:65]
	v_fma_f64 v[64:65], v[58:59], s[16:17], v[100:101]
	v_fma_f64 v[70:71], v[54:55], s[16:17], v[104:105]
	v_fma_f64 v[94:95], v[66:67], s[16:17], v[62:63]
	v_fma_f64 v[100:101], v[146:147], s[16:17], v[136:137]
	v_fma_f64 v[84:85], v[118:119], s[18:19], v[128:129]
	v_fma_f64 v[102:103], v[66:67], s[16:17], v[60:61]
	v_fma_f64 v[98:99], v[98:99], s[4:5], -v[140:141]
	v_fma_f64 v[38:39], v[58:59], s[16:17], v[38:39]
	v_fma_f64 v[88:89], v[88:89], s[12:13], -v[144:145]
	v_add_f64_e64 v[6:7], v[12:13], -v[8:9]
	v_fma_f64 v[80:81], v[130:131], s[18:19], v[114:115]
	v_add_f64_e64 v[8:9], v[16:17], -v[10:11]
	v_add_f64_e32 v[10:11], v[18:19], v[22:23]
	v_add_f64_e32 v[12:13], v[20:21], v[24:25]
	v_add_f64_e64 v[14:15], v[18:19], -v[22:23]
	v_fma_f64 v[96:97], v[138:139], s[16:17], v[132:133]
	v_fma_f64 v[90:91], v[90:91], s[10:11], -v[142:143]
	v_fma_f64 v[104:105], v[86:87], s[14:15], -v[148:149]
	v_add_f64_e64 v[16:17], v[20:21], -v[24:25]
	v_and_b32_e32 v106, 0xffff, v158
	v_add_f64_e32 v[18:19], v[26:27], v[32:33]
	v_add_f64_e32 v[20:21], v[28:29], v[34:35]
	v_add_f64_e64 v[22:23], v[26:27], -v[32:33]
	v_add_f64_e64 v[24:25], v[28:29], -v[34:35]
	v_add_f64_e32 v[26:27], v[30:31], v[48:49]
	v_add_f64_e32 v[28:29], v[36:37], v[52:53]
	v_add_f64_e64 v[32:33], v[36:37], -v[52:53]
	v_add_f64_e32 v[34:35], v[50:51], v[46:47]
	v_add_f64_e32 v[36:37], v[68:69], v[76:77]
	v_add_f64_e64 v[46:47], v[50:51], -v[46:47]
	v_add_f64_e64 v[30:31], v[30:31], -v[48:49]
	v_add_f64_e32 v[50:51], v[150:151], v[56:57]
	v_add_f64_e32 v[52:53], v[72:73], v[78:79]
	v_add_f64_e64 v[48:49], v[68:69], -v[76:77]
	v_add_f64_e64 v[54:55], v[150:151], -v[56:57]
	;; [unrolled: 1-line block ×3, first 2 shown]
	v_add_f64_e32 v[68:69], v[94:95], v[100:101]
	v_add_f64_e32 v[60:61], v[64:65], v[84:85]
	v_add_f64_e64 v[64:65], v[64:65], -v[84:85]
	v_add_f64_e64 v[72:73], v[94:95], -v[100:101]
	v_add_f64_e32 v[78:79], v[92:93], v[88:89]
	v_add_f64_e64 v[86:87], v[92:93], -v[88:89]
	v_add_f64_e32 v[58:59], v[74:75], v[80:81]
	;; [unrolled: 2-line block ×3, first 2 shown]
	v_add_f64_e64 v[82:83], v[82:83], -v[98:99]
	v_lshlrev_b32_e32 v92, 4, v164
	v_add_f64_e32 v[66:67], v[70:71], v[96:97]
	v_add_f64_e32 v[76:77], v[102:103], v[90:91]
	;; [unrolled: 1-line block ×3, first 2 shown]
	v_add_f64_e64 v[70:71], v[70:71], -v[96:97]
	v_add_f64_e64 v[84:85], v[102:103], -v[90:91]
	;; [unrolled: 1-line block ×3, first 2 shown]
	v_mul_u32_u24_e32 v90, 0x147b, v106
	v_lshlrev_b64_e32 v[38:39], 4, v[0:1]
	v_mul_u32_u24_e32 v91, 0x640, v163
	s_delay_alu instid0(VALU_DEP_3) | instskip(SKIP_1) | instid1(VALU_DEP_4)
	v_lshrrev_b32_e32 v0, 17, v90
	v_lshlrev_b32_e32 v90, 4, v162
	v_add_co_u32 v38, s0, s8, v38
	s_wait_alu 0xf1ff
	v_add_co_ci_u32_e64 v39, s0, s9, v39, s0
	s_delay_alu instid0(VALU_DEP_3)
	v_add3_u32 v43, 0, v43, v90
	v_add3_u32 v90, 0, v91, v92
	ds_store_b128 v43, v[2:5]
	ds_store_b128 v43, v[18:21] offset:160
	ds_store_b128 v43, v[26:29] offset:320
	;; [unrolled: 1-line block ×9, first 2 shown]
	ds_store_b128 v90, v[10:13]
	ds_store_b128 v90, v[58:61] offset:160
	ds_store_b128 v90, v[66:69] offset:320
	;; [unrolled: 1-line block ×9, first 2 shown]
	global_wb scope:SCOPE_SE
	s_wait_dscnt 0x0
	s_barrier_signal -1
	s_barrier_wait -1
	global_inv scope:SCOPE_SE
	s_clause 0x2
	global_load_b128 v[2:5], v[38:39], off offset:1456
	global_load_b128 v[6:9], v[38:39], off offset:1472
	;; [unrolled: 1-line block ×3, first 2 shown]
	v_mul_lo_u16 v14, 0x64, v0
	v_cmp_lt_u32_e64 s0, 0x63, v42
	v_mul_u32_u24_e32 v0, 0x3e80, v0
	s_delay_alu instid0(VALU_DEP_3) | instskip(NEXT) | instid1(VALU_DEP_1)
	v_sub_nc_u16 v14, v161, v14
	v_and_b32_e32 v43, 0xffff, v14
	s_clause 0x1
	global_load_b128 v[14:17], v[38:39], off offset:1520
	global_load_b128 v[18:21], v[38:39], off offset:1552
	v_mul_u32_u24_e32 v22, 9, v43
	v_lshlrev_b32_e32 v43, 4, v43
	s_delay_alu instid0(VALU_DEP_2)
	v_lshlrev_b32_e32 v22, 4, v22
	s_clause 0xc
	global_load_b128 v[28:31], v22, s[8:9] offset:1456
	global_load_b128 v[34:37], v22, s[8:9] offset:1488
	;; [unrolled: 1-line block ×4, first 2 shown]
	global_load_b128 v[62:65], v[38:39], off offset:1440
	global_load_b128 v[68:71], v[38:39], off offset:1504
	;; [unrolled: 1-line block ×4, first 2 shown]
	global_load_b128 v[80:83], v22, s[8:9] offset:1440
	global_load_b128 v[84:87], v22, s[8:9] offset:1472
	;; [unrolled: 1-line block ×5, first 2 shown]
	ds_load_b128 v[22:25], v160 offset:12800
	ds_load_b128 v[58:61], v160 offset:19200
	;; [unrolled: 1-line block ×15, first 2 shown]
	v_add3_u32 v0, 0, v0, v43
	s_wait_loadcnt_dscnt 0x100d
	v_mul_f64_e32 v[32:33], v[60:61], v[8:9]
	v_mul_f64_e32 v[8:9], v[58:59], v[8:9]
	;; [unrolled: 1-line block ×4, first 2 shown]
	s_wait_loadcnt_dscnt 0xf0c
	v_mul_f64_e32 v[38:39], v[102:103], v[12:13]
	v_mul_f64_e32 v[12:13], v[100:101], v[12:13]
	s_wait_loadcnt_dscnt 0xe0b
	v_mul_f64_e32 v[46:47], v[106:107], v[16:17]
	v_mul_f64_e32 v[16:17], v[104:105], v[16:17]
	;; [unrolled: 3-line block ×5, first 2 shown]
	v_fma_f64 v[58:59], v[58:59], v[6:7], -v[32:33]
	v_fma_f64 v[60:61], v[60:61], v[6:7], v[8:9]
	ds_load_b128 v[153:156], v160 offset:6400
	ds_load_b128 v[6:9], v160 offset:57600
	v_fma_f64 v[20:21], v[22:23], v[2:3], -v[26:27]
	v_fma_f64 v[22:23], v[24:25], v[2:3], v[4:5]
	s_wait_loadcnt_dscnt 0xa07
	v_mul_f64_e32 v[2:3], v[131:132], v[50:51]
	v_mul_f64_e32 v[4:5], v[129:130], v[50:51]
	v_fma_f64 v[24:25], v[100:101], v[10:11], -v[38:39]
	v_fma_f64 v[26:27], v[102:103], v[10:11], v[12:13]
	s_wait_loadcnt_dscnt 0x903
	v_mul_f64_e32 v[10:11], v[143:144], v[56:57]
	v_mul_f64_e32 v[50:51], v[141:142], v[56:57]
	ds_load_b128 v[100:103], v160 offset:3200
	v_fma_f64 v[30:31], v[104:105], v[14:15], -v[46:47]
	v_fma_f64 v[32:33], v[106:107], v[14:15], v[16:17]
	v_fma_f64 v[14:15], v[112:113], v[18:19], -v[52:53]
	v_fma_f64 v[12:13], v[114:115], v[18:19], v[66:67]
	s_wait_loadcnt_dscnt 0x703
	v_mul_f64_e32 v[66:67], v[147:148], v[70:71]
	s_wait_loadcnt 0x6
	v_mul_f64_e32 v[112:113], v[151:152], v[74:75]
	v_fma_f64 v[36:37], v[116:117], v[28:29], -v[157:158]
	v_fma_f64 v[46:47], v[118:119], v[28:29], v[165:166]
	v_fma_f64 v[38:39], v[125:126], v[34:35], -v[167:168]
	s_wait_dscnt 0x2
	v_mul_f64_e32 v[56:57], v[155:156], v[64:65]
	s_wait_loadcnt_dscnt 0x501
	v_mul_f64_e32 v[114:115], v[8:9], v[78:79]
	v_mul_f64_e32 v[28:29], v[153:154], v[64:65]
	;; [unrolled: 1-line block ×5, first 2 shown]
	v_fma_f64 v[52:53], v[127:128], v[34:35], v[169:170]
	s_wait_loadcnt 0x4
	v_mul_f64_e32 v[34:35], v[110:111], v[82:83]
	v_mul_f64_e32 v[78:79], v[108:109], v[82:83]
	s_wait_loadcnt 0x3
	v_mul_f64_e32 v[82:83], v[123:124], v[86:87]
	ds_load_b128 v[104:107], v160 offset:60800
	ds_load_b128 v[161:164], v160
	v_mul_f64_e32 v[86:87], v[121:122], v[86:87]
	s_wait_loadcnt 0x2
	v_mul_f64_e32 v[116:117], v[135:136], v[90:91]
	v_mul_f64_e32 v[90:91], v[133:134], v[90:91]
	s_wait_loadcnt 0x1
	v_mul_f64_e32 v[118:119], v[139:140], v[94:95]
	v_mul_f64_e32 v[94:95], v[137:138], v[94:95]
	global_wb scope:SCOPE_SE
	s_wait_loadcnt_dscnt 0x0
	s_barrier_signal -1
	s_barrier_wait -1
	global_inv scope:SCOPE_SE
	v_fma_f64 v[16:17], v[129:130], v[48:49], -v[2:3]
	v_fma_f64 v[18:19], v[131:132], v[48:49], v[4:5]
	v_fma_f64 v[2:3], v[141:142], v[54:55], -v[10:11]
	v_fma_f64 v[4:5], v[143:144], v[54:55], v[50:51]
	v_mul_f64_e32 v[10:11], v[106:107], v[98:99]
	v_mul_f64_e32 v[98:99], v[104:105], v[98:99]
	v_add_f64_e32 v[125:126], v[161:162], v[20:21]
	v_add_f64_e32 v[127:128], v[163:164], v[22:23]
	v_fma_f64 v[66:67], v[145:146], v[68:69], -v[66:67]
	v_fma_f64 v[50:51], v[149:150], v[72:73], -v[112:113]
	v_add_f64_e64 v[112:113], v[26:27], -v[22:23]
	v_add_f64_e32 v[129:130], v[100:101], v[36:37]
	v_add_f64_e64 v[143:144], v[38:39], -v[36:37]
	v_fma_f64 v[6:7], v[6:7], v[76:77], -v[114:115]
	v_add_f64_e64 v[114:115], v[32:33], -v[12:13]
	v_fma_f64 v[68:69], v[147:148], v[68:69], v[64:65]
	v_fma_f64 v[48:49], v[151:152], v[72:73], v[70:71]
	;; [unrolled: 1-line block ×3, first 2 shown]
	v_fma_f64 v[74:75], v[153:154], v[62:63], -v[56:57]
	v_fma_f64 v[70:71], v[108:109], v[80:81], -v[34:35]
	v_fma_f64 v[64:65], v[110:111], v[80:81], v[78:79]
	v_fma_f64 v[72:73], v[121:122], v[84:85], -v[82:83]
	v_add_f64_e32 v[80:81], v[24:25], v[30:31]
	v_add_f64_e32 v[82:83], v[20:21], v[14:15]
	v_fma_f64 v[76:77], v[155:156], v[62:63], v[28:29]
	v_fma_f64 v[78:79], v[123:124], v[84:85], v[86:87]
	v_fma_f64 v[54:55], v[133:134], v[88:89], -v[116:117]
	v_fma_f64 v[56:57], v[135:136], v[88:89], v[90:91]
	v_fma_f64 v[28:29], v[137:138], v[92:93], -v[118:119]
	v_fma_f64 v[34:35], v[139:140], v[92:93], v[94:95]
	v_add_f64_e32 v[84:85], v[26:27], v[32:33]
	v_add_f64_e32 v[86:87], v[22:23], v[12:13]
	v_add_f64_e64 v[108:109], v[22:23], -v[26:27]
	v_add_f64_e64 v[110:111], v[12:13], -v[32:33]
	v_add_f64_e32 v[88:89], v[38:39], v[16:17]
	v_add_f64_e32 v[92:93], v[52:53], v[18:19]
	v_add_f64_e64 v[139:140], v[36:37], -v[38:39]
	v_add_f64_e64 v[147:148], v[46:47], -v[52:53]
	v_add_f64_e32 v[90:91], v[36:37], v[2:3]
	v_add_f64_e32 v[94:95], v[46:47], v[4:5]
	v_add_f64_e64 v[141:142], v[2:3], -v[16:17]
	v_fma_f64 v[10:11], v[104:105], v[96:97], -v[10:11]
	v_fma_f64 v[62:63], v[106:107], v[96:97], v[98:99]
	v_add_f64_e64 v[145:146], v[16:17], -v[2:3]
	v_add_f64_e64 v[149:150], v[4:5], -v[18:19]
	;; [unrolled: 1-line block ×4, first 2 shown]
	v_add_f64_e32 v[153:154], v[66:67], v[50:51]
	v_add_f64_e64 v[96:97], v[20:21], -v[24:25]
	v_add_f64_e64 v[98:99], v[14:15], -v[30:31]
	;; [unrolled: 1-line block ×9, first 2 shown]
	v_add_f64_e32 v[157:158], v[58:59], v[6:7]
	v_add_f64_e64 v[106:107], v[30:31], -v[14:15]
	v_add_f64_e64 v[151:152], v[52:53], -v[46:47]
	;; [unrolled: 1-line block ×3, first 2 shown]
	v_add_f64_e32 v[165:166], v[68:69], v[48:49]
	v_fma_f64 v[80:81], v[80:81], -0.5, v[161:162]
	v_fma_f64 v[82:83], v[82:83], -0.5, v[161:162]
	v_add_f64_e32 v[161:162], v[60:61], v[8:9]
	v_add_f64_e32 v[112:113], v[112:113], v[114:115]
	;; [unrolled: 1-line block ×4, first 2 shown]
	v_fma_f64 v[84:85], v[84:85], -0.5, v[163:164]
	v_fma_f64 v[86:87], v[86:87], -0.5, v[163:164]
	v_add_f64_e32 v[163:164], v[102:103], v[46:47]
	v_add_f64_e32 v[108:109], v[108:109], v[110:111]
	v_fma_f64 v[88:89], v[88:89], -0.5, v[100:101]
	v_fma_f64 v[92:93], v[92:93], -0.5, v[102:103]
	v_add_f64_e64 v[110:111], v[78:79], -v[56:57]
	v_add_f64_e64 v[22:23], v[22:23], -v[12:13]
	v_fma_f64 v[90:91], v[90:91], -0.5, v[100:101]
	v_fma_f64 v[94:95], v[94:95], -0.5, v[102:103]
	v_add_f64_e64 v[100:101], v[72:73], -v[54:55]
	v_add_f64_e64 v[102:103], v[10:11], -v[28:29]
	;; [unrolled: 1-line block ×3, first 2 shown]
	v_add_f64_e32 v[139:140], v[139:140], v[141:142]
	v_add_f64_e64 v[141:142], v[68:69], -v[48:49]
	v_add_f64_e32 v[143:144], v[143:144], v[145:146]
	v_add_f64_e32 v[145:146], v[54:55], v[28:29]
	;; [unrolled: 1-line block ×3, first 2 shown]
	v_fma_f64 v[149:150], v[153:154], -0.5, v[74:75]
	v_add_f64_e32 v[96:97], v[96:97], v[98:99]
	v_add_f64_e64 v[98:99], v[54:55], -v[72:73]
	v_add_f64_e32 v[116:117], v[116:117], v[118:119]
	v_add_f64_e64 v[118:119], v[56:57], -v[78:79]
	;; [unrolled: 2-line block ×3, first 2 shown]
	v_add_f64_e32 v[131:132], v[131:132], v[133:134]
	v_add_f64_e32 v[133:134], v[74:75], v[58:59]
	;; [unrolled: 1-line block ×4, first 2 shown]
	v_add_f64_e64 v[60:61], v[60:61], -v[8:9]
	v_fma_f64 v[74:75], v[157:158], -0.5, v[74:75]
	v_add_f64_e32 v[157:158], v[56:57], v[34:35]
	v_add_f64_e32 v[104:105], v[104:105], v[106:107]
	v_add_f64_e64 v[106:107], v[28:29], -v[10:11]
	v_add_f64_e32 v[153:154], v[72:73], v[10:11]
	v_add_f64_e64 v[58:59], v[58:59], -v[6:7]
	v_add_f64_e32 v[151:152], v[151:152], v[155:156]
	v_fma_f64 v[155:156], v[165:166], -0.5, v[76:77]
	v_add_f64_e32 v[165:166], v[78:79], v[62:63]
	v_fma_f64 v[76:77], v[161:162], -0.5, v[76:77]
	v_add_f64_e64 v[161:162], v[66:67], -v[50:51]
	v_add_f64_e64 v[26:27], v[26:27], -v[32:33]
	;; [unrolled: 1-line block ×5, first 2 shown]
	v_add_f64_e32 v[163:164], v[163:164], v[52:53]
	v_add_f64_e64 v[52:53], v[52:53], -v[18:19]
	v_add_f64_e64 v[36:37], v[36:37], -v[2:3]
	v_add_f64_e32 v[129:130], v[129:130], v[38:39]
	v_add_f64_e32 v[100:101], v[100:101], v[102:103]
	;; [unrolled: 1-line block ×5, first 2 shown]
	v_add_f64_e64 v[78:79], v[78:79], -v[62:63]
	v_add_f64_e64 v[72:73], v[72:73], -v[10:11]
	;; [unrolled: 1-line block ×3, first 2 shown]
	v_add_f64_e32 v[30:31], v[125:126], v[30:31]
	v_add_f64_e32 v[32:33], v[127:128], v[32:33]
	;; [unrolled: 1-line block ×3, first 2 shown]
	v_fma_f64 v[123:124], v[145:146], -0.5, v[70:71]
	v_add_f64_e32 v[66:67], v[133:134], v[66:67]
	v_add_f64_e32 v[68:69], v[137:138], v[68:69]
	v_fma_f64 v[133:134], v[60:61], s[4:5], v[149:150]
	v_fma_f64 v[137:138], v[60:61], s[10:11], v[149:150]
	;; [unrolled: 1-line block ×4, first 2 shown]
	v_fma_f64 v[149:150], v[157:158], -0.5, v[64:65]
	v_add_f64_e32 v[98:99], v[98:99], v[106:107]
	v_add_f64_e64 v[106:107], v[54:55], -v[28:29]
	v_fma_f64 v[70:71], v[153:154], -0.5, v[70:71]
	v_fma_f64 v[153:154], v[58:59], s[10:11], v[155:156]
	v_fma_f64 v[155:156], v[58:59], s[4:5], v[155:156]
	v_fma_f64 v[64:65], v[165:166], -0.5, v[64:65]
	v_fma_f64 v[157:158], v[161:162], s[4:5], v[76:77]
	v_fma_f64 v[76:77], v[161:162], s[10:11], v[76:77]
	v_add_f64_e64 v[165:166], v[56:57], -v[34:35]
	v_add_f64_e32 v[18:19], v[163:164], v[18:19]
	v_add_f64_e32 v[16:17], v[129:130], v[16:17]
	;; [unrolled: 1-line block ×3, first 2 shown]
	v_fma_f64 v[102:103], v[26:27], s[10:11], v[82:83]
	v_add_f64_e32 v[56:57], v[114:115], v[56:57]
	v_fma_f64 v[82:83], v[26:27], s[4:5], v[82:83]
	v_add_f64_e32 v[14:15], v[30:31], v[14:15]
	v_add_f64_e32 v[12:13], v[32:33], v[12:13]
	v_add_f64_e32 v[50:51], v[66:67], v[50:51]
	v_fma_f64 v[66:67], v[22:23], s[4:5], v[80:81]
	v_fma_f64 v[80:81], v[22:23], s[10:11], v[80:81]
	;; [unrolled: 1-line block ×18, first 2 shown]
	v_add_f64_e32 v[48:49], v[68:69], v[48:49]
	v_fma_f64 v[68:69], v[20:21], s[10:11], v[84:85]
	v_fma_f64 v[84:85], v[20:21], s[4:5], v[84:85]
	v_add_f64_e32 v[16:17], v[16:17], v[2:3]
	v_add_f64_e32 v[18:19], v[18:19], v[4:5]
	;; [unrolled: 1-line block ×3, first 2 shown]
	v_fma_f64 v[54:55], v[22:23], s[12:13], v[102:103]
	v_add_f64_e32 v[34:35], v[56:57], v[34:35]
	v_fma_f64 v[22:23], v[22:23], s[14:15], v[82:83]
	v_add_f64_e32 v[6:7], v[50:51], v[6:7]
	v_fma_f64 v[30:31], v[26:27], s[12:13], v[66:67]
	v_fma_f64 v[26:27], v[26:27], s[14:15], v[80:81]
	;; [unrolled: 1-line block ×28, first 2 shown]
	v_add_f64_e32 v[8:9], v[48:49], v[8:9]
	v_add_f64_e32 v[28:29], v[28:29], v[10:11]
	;; [unrolled: 1-line block ×3, first 2 shown]
	v_fma_f64 v[50:51], v[104:105], s[16:17], v[22:23]
	v_fma_f64 v[48:49], v[104:105], s[16:17], v[54:55]
	v_add_f64_e32 v[2:3], v[14:15], v[6:7]
	v_fma_f64 v[30:31], v[96:97], s[16:17], v[30:31]
	v_fma_f64 v[62:63], v[96:97], s[16:17], v[26:27]
	v_mul_f64_e32 v[66:67], s[14:15], v[114:115]
	v_fma_f64 v[84:85], v[52:53], s[12:13], v[133:134]
	v_fma_f64 v[137:138], v[100:101], s[16:17], v[141:142]
	;; [unrolled: 1-line block ×5, first 2 shown]
	v_mul_f64_e32 v[82:83], s[10:11], v[127:128]
	v_fma_f64 v[52:53], v[52:53], s[14:15], v[88:89]
	v_fma_f64 v[88:89], v[46:47], s[12:13], v[121:122]
	;; [unrolled: 1-line block ×4, first 2 shown]
	v_mul_f64_e32 v[80:81], s[4:5], v[125:126]
	v_add_f64_e64 v[6:7], v[14:15], -v[6:7]
	v_fma_f64 v[76:77], v[98:99], s[16:17], v[76:77]
	v_fma_f64 v[70:71], v[98:99], s[16:17], v[70:71]
	v_fma_f64 v[64:65], v[118:119], s[16:17], v[64:65]
	v_fma_f64 v[72:73], v[100:101], s[16:17], v[72:73]
	v_fma_f64 v[78:79], v[110:111], s[16:17], v[78:79]
	v_mul_f64_e32 v[56:57], s[12:13], v[106:107]
	v_fma_f64 v[68:69], v[20:21], s[14:15], v[123:124]
	v_fma_f64 v[20:21], v[20:21], s[12:13], v[86:87]
	v_mul_f64_e32 v[86:87], s[16:17], v[60:61]
	v_mul_f64_e32 v[98:99], s[16:17], v[58:59]
	;; [unrolled: 1-line block ×4, first 2 shown]
	v_fma_f64 v[90:91], v[38:39], s[14:15], v[135:136]
	v_fma_f64 v[38:39], v[38:39], s[12:13], v[92:93]
	;; [unrolled: 1-line block ×3, first 2 shown]
	v_add_f64_e32 v[4:5], v[12:13], v[8:9]
	v_add_f64_e64 v[8:9], v[12:13], -v[8:9]
	v_add_f64_e32 v[10:11], v[16:17], v[28:29]
	v_add_f64_e32 v[12:13], v[18:19], v[34:35]
	v_add_f64_e64 v[14:15], v[16:17], -v[28:29]
	v_add_f64_e64 v[16:17], v[18:19], -v[34:35]
	v_fma_f64 v[32:33], v[106:107], s[18:19], v[66:67]
	v_mul_f64_e32 v[118:119], s[14:15], v[137:138]
	v_fma_f64 v[92:93], v[36:37], s[14:15], v[141:142]
	v_fma_f64 v[36:37], v[36:37], s[12:13], v[94:95]
	v_mul_f64_e32 v[110:111], s[12:13], v[74:75]
	v_mul_f64_e32 v[121:122], s[4:5], v[145:146]
	v_fma_f64 v[66:67], v[127:128], s[16:17], v[80:81]
	v_mul_f64_e32 v[123:124], s[10:11], v[76:77]
	v_mul_f64_e32 v[94:95], s[16:17], v[70:71]
	;; [unrolled: 1-line block ×5, first 2 shown]
	v_fma_f64 v[22:23], v[114:115], s[18:19], v[56:57]
	v_fma_f64 v[54:55], v[112:113], s[16:17], v[68:69]
	;; [unrolled: 1-line block ×4, first 2 shown]
	v_fma_f64 v[58:59], v[58:59], s[4:5], -v[86:87]
	v_fma_f64 v[60:61], v[60:61], s[10:11], -v[98:99]
	v_fma_f64 v[56:57], v[108:109], s[16:17], v[24:25]
	v_fma_f64 v[82:83], v[139:140], s[16:17], v[84:85]
	v_fma_f64 v[84:85], v[143:144], s[16:17], v[88:89]
	v_fma_f64 v[88:89], v[131:132], s[12:13], -v[100:101]
	v_fma_f64 v[96:97], v[116:117], s[14:15], -v[102:103]
	v_fma_f64 v[90:91], v[147:148], s[16:17], v[90:91]
	v_fma_f64 v[98:99], v[143:144], s[16:17], v[46:47]
	;; [unrolled: 1-line block ×4, first 2 shown]
	v_add_f64_e32 v[20:21], v[26:27], v[32:33]
	v_add_f64_e64 v[24:25], v[26:27], -v[32:33]
	v_fma_f64 v[74:75], v[74:75], s[18:19], v[118:119]
	v_fma_f64 v[92:93], v[151:152], s[16:17], v[92:93]
	;; [unrolled: 1-line block ×5, first 2 shown]
	v_add_f64_e32 v[26:27], v[48:49], v[66:67]
	v_fma_f64 v[102:103], v[145:146], s[16:17], v[123:124]
	v_fma_f64 v[94:95], v[64:65], s[4:5], -v[94:95]
	v_fma_f64 v[106:107], v[70:71], s[10:11], -v[129:130]
	;; [unrolled: 1-line block ×4, first 2 shown]
	v_add_f64_e32 v[18:19], v[30:31], v[22:23]
	v_add_f64_e64 v[22:23], v[30:31], -v[22:23]
	v_add_f64_e32 v[28:29], v[54:55], v[68:69]
	v_add_f64_e64 v[30:31], v[48:49], -v[66:67]
	v_add_f64_e32 v[34:35], v[50:51], v[58:59]
	v_add_f64_e32 v[36:37], v[80:81], v[60:61]
	v_add_f64_e64 v[46:47], v[50:51], -v[58:59]
	v_add_f64_e64 v[32:33], v[54:55], -v[68:69]
	;; [unrolled: 1-line block ×3, first 2 shown]
	v_add_f64_e32 v[50:51], v[62:63], v[88:89]
	v_add_f64_e32 v[52:53], v[56:57], v[96:97]
	v_add_f64_e64 v[54:55], v[62:63], -v[88:89]
	v_add_f64_e64 v[56:57], v[56:57], -v[96:97]
	v_add_f64_e32 v[60:61], v[90:91], v[74:75]
	v_add_f64_e64 v[64:65], v[90:91], -v[74:75]
	v_lshlrev_b32_e32 v90, 4, v120
	v_add_f64_e32 v[58:59], v[82:83], v[100:101]
	v_add_f64_e64 v[62:63], v[82:83], -v[100:101]
	v_add_f64_e32 v[66:67], v[84:85], v[76:77]
	v_add_f64_e64 v[70:71], v[84:85], -v[76:77]
	v_add_f64_e32 v[68:69], v[92:93], v[102:103]
	v_add_f64_e32 v[74:75], v[98:99], v[94:95]
	v_add_f64_e32 v[76:77], v[104:105], v[106:107]
	v_add_f64_e32 v[78:79], v[86:87], v[108:109]
	v_add_f64_e32 v[80:81], v[38:39], v[110:111]
	v_add_f64_e64 v[72:73], v[92:93], -v[102:103]
	v_add_f64_e64 v[82:83], v[98:99], -v[94:95]
	v_add_f64_e64 v[84:85], v[104:105], -v[106:107]
	v_add_f64_e64 v[86:87], v[86:87], -v[108:109]
	v_add_f64_e64 v[88:89], v[38:39], -v[110:111]
	v_mul_u32_u24_e32 v38, 3, v42
	s_wait_alu 0xf1ff
	v_cndmask_b32_e64 v39, 0, 0x3e80, s0
	s_delay_alu instid0(VALU_DEP_2) | instskip(NEXT) | instid1(VALU_DEP_2)
	v_lshlrev_b32_e32 v38, 4, v38
	v_add3_u32 v39, 0, v39, v90
	ds_store_b128 v39, v[2:5]
	ds_store_b128 v39, v[18:21] offset:1600
	ds_store_b128 v39, v[26:29] offset:3200
	;; [unrolled: 1-line block ×9, first 2 shown]
	ds_store_b128 v0, v[10:13]
	ds_store_b128 v0, v[58:61] offset:1600
	ds_store_b128 v0, v[66:69] offset:3200
	;; [unrolled: 1-line block ×9, first 2 shown]
	global_wb scope:SCOPE_SE
	s_wait_dscnt 0x0
	s_barrier_signal -1
	s_barrier_wait -1
	global_inv scope:SCOPE_SE
	s_clause 0xa
	global_load_b128 v[2:5], v38, s[8:9] offset:15840
	global_load_b128 v[6:9], v38, s[8:9] offset:15856
	;; [unrolled: 1-line block ×11, first 2 shown]
	v_add_nc_u32_e32 v0, 0x9600, v38
	s_clause 0x3
	global_load_b128 v[54:57], v38, s[8:9] offset:44672
	global_load_b128 v[58:61], v0, s[8:9] offset:15840
	;; [unrolled: 1-line block ×4, first 2 shown]
	ds_load_b128 v[70:73], v160 offset:16000
	ds_load_b128 v[74:77], v160 offset:32000
	;; [unrolled: 1-line block ×15, first 2 shown]
	ds_load_b128 v[130:133], v160
	s_wait_loadcnt_dscnt 0xe0f
	v_mul_f64_e32 v[38:39], v[72:73], v[4:5]
	v_mul_f64_e32 v[4:5], v[70:71], v[4:5]
	s_wait_loadcnt_dscnt 0xd0e
	v_mul_f64_e32 v[134:135], v[76:77], v[8:9]
	v_mul_f64_e32 v[8:9], v[74:75], v[8:9]
	;; [unrolled: 3-line block ×6, first 2 shown]
	s_wait_loadcnt 0x8
	v_mul_f64_e32 v[144:145], v[96:97], v[28:29]
	v_mul_f64_e32 v[28:29], v[94:95], v[28:29]
	s_wait_loadcnt_dscnt 0x707
	v_mul_f64_e32 v[146:147], v[104:105], v[32:33]
	v_mul_f64_e32 v[32:33], v[102:103], v[32:33]
	s_wait_loadcnt_dscnt 0x606
	v_mul_f64_e32 v[148:149], v[108:109], v[36:37]
	v_fma_f64 v[38:39], v[70:71], v[2:3], -v[38:39]
	v_fma_f64 v[70:71], v[72:73], v[2:3], v[4:5]
	v_mul_f64_e32 v[2:3], v[106:107], v[36:37]
	s_wait_loadcnt_dscnt 0x404
	v_mul_f64_e32 v[36:37], v[116:117], v[52:53]
	v_mul_f64_e32 v[52:53], v[114:115], v[52:53]
	v_fma_f64 v[72:73], v[74:75], v[6:7], -v[134:135]
	v_fma_f64 v[74:75], v[76:77], v[6:7], v[8:9]
	s_wait_loadcnt_dscnt 0x303
	v_mul_f64_e32 v[6:7], v[120:121], v[56:57]
	v_mul_f64_e32 v[8:9], v[118:119], v[56:57]
	s_wait_loadcnt 0x2
	v_mul_f64_e32 v[56:57], v[88:89], v[60:61]
	v_mul_f64_e32 v[60:61], v[86:87], v[60:61]
	v_fma_f64 v[76:77], v[78:79], v[10:11], -v[136:137]
	v_fma_f64 v[78:79], v[80:81], v[10:11], v[12:13]
	s_wait_loadcnt_dscnt 0x102
	v_mul_f64_e32 v[10:11], v[124:125], v[64:65]
	v_mul_f64_e32 v[12:13], v[122:123], v[64:65]
	s_wait_loadcnt_dscnt 0x1
	v_mul_f64_e32 v[64:65], v[128:129], v[68:69]
	v_mul_f64_e32 v[68:69], v[126:127], v[68:69]
	;; [unrolled: 1-line block ×3, first 2 shown]
	v_fma_f64 v[80:81], v[82:83], v[14:15], -v[138:139]
	v_fma_f64 v[82:83], v[84:85], v[14:15], v[16:17]
	v_mul_f64_e32 v[14:15], v[110:111], v[48:49]
	v_fma_f64 v[48:49], v[90:91], v[18:19], -v[140:141]
	v_fma_f64 v[18:19], v[92:93], v[18:19], v[20:21]
	v_fma_f64 v[20:21], v[98:99], v[22:23], -v[142:143]
	v_fma_f64 v[22:23], v[100:101], v[22:23], v[24:25]
	;; [unrolled: 2-line block ×6, first 2 shown]
	s_wait_dscnt 0x0
	v_add_f64_e64 v[72:73], v[130:131], -v[72:73]
	v_add_f64_e64 v[74:75], v[132:133], -v[74:75]
	v_fma_f64 v[52:53], v[118:119], v[54:55], -v[6:7]
	v_fma_f64 v[54:55], v[120:121], v[54:55], v[8:9]
	v_fma_f64 v[56:57], v[86:87], v[58:59], -v[56:57]
	v_fma_f64 v[58:59], v[88:89], v[58:59], v[60:61]
	;; [unrolled: 2-line block ×5, first 2 shown]
	ds_load_b128 v[2:5], v160 offset:3200
	ds_load_b128 v[6:9], v160 offset:6400
	;; [unrolled: 1-line block ×4, first 2 shown]
	v_add_f64_e64 v[48:49], v[76:77], -v[48:49]
	v_add_f64_e64 v[18:19], v[78:79], -v[18:19]
	global_wb scope:SCOPE_SE
	s_wait_dscnt 0x0
	s_barrier_signal -1
	s_barrier_wait -1
	global_inv scope:SCOPE_SE
	v_add_f64_e64 v[80:81], v[2:3], -v[80:81]
	v_add_f64_e64 v[82:83], v[4:5], -v[82:83]
	v_add_f64_e64 v[84:85], v[6:7], -v[24:25]
	v_add_f64_e64 v[86:87], v[8:9], -v[26:27]
	v_add_f64_e64 v[24:25], v[20:21], -v[28:29]
	v_add_f64_e64 v[26:27], v[22:23], -v[30:31]
	v_add_f64_e64 v[88:89], v[10:11], -v[36:37]
	v_add_f64_e64 v[90:91], v[12:13], -v[50:51]
	v_add_f64_e64 v[28:29], v[32:33], -v[52:53]
	v_add_f64_e64 v[30:31], v[34:35], -v[54:55]
	v_fma_f64 v[96:97], v[130:131], 2.0, -v[72:73]
	v_fma_f64 v[98:99], v[132:133], 2.0, -v[74:75]
	v_add_f64_e64 v[92:93], v[14:15], -v[60:61]
	v_add_f64_e64 v[94:95], v[16:17], -v[62:63]
	;; [unrolled: 1-line block ×6, first 2 shown]
	v_fma_f64 v[54:55], v[76:77], 2.0, -v[48:49]
	v_fma_f64 v[60:61], v[78:79], 2.0, -v[18:19]
	;; [unrolled: 1-line block ×12, first 2 shown]
	v_add_f64_e64 v[6:7], v[80:81], -v[18:19]
	v_add_f64_e32 v[8:9], v[82:83], v[48:49]
	v_add_f64_e64 v[10:11], v[84:85], -v[26:27]
	v_fma_f64 v[108:109], v[14:15], 2.0, -v[92:93]
	v_fma_f64 v[110:111], v[16:17], 2.0, -v[94:95]
	;; [unrolled: 1-line block ×5, first 2 shown]
	v_add_f64_e32 v[4:5], v[74:75], v[52:53]
	v_add_f64_e32 v[12:13], v[86:87], v[24:25]
	v_fma_f64 v[66:67], v[70:71], 2.0, -v[46:47]
	v_add_f64_e64 v[2:3], v[72:73], -v[46:47]
	v_add_f64_e64 v[14:15], v[88:89], -v[30:31]
	v_add_f64_e32 v[16:17], v[90:91], v[28:29]
	v_add_f64_e64 v[18:19], v[92:93], -v[50:51]
	v_add_f64_e32 v[20:21], v[94:95], v[36:37]
	v_add_f64_e64 v[22:23], v[100:101], -v[54:55]
	v_add_f64_e64 v[24:25], v[102:103], -v[60:61]
	;; [unrolled: 1-line block ×6, first 2 shown]
	v_fma_f64 v[54:55], v[80:81], 2.0, -v[6:7]
	v_add_f64_e64 v[34:35], v[108:109], -v[56:57]
	v_add_f64_e64 v[36:37], v[110:111], -v[58:59]
	;; [unrolled: 1-line block ×3, first 2 shown]
	v_fma_f64 v[52:53], v[74:75], 2.0, -v[4:5]
	v_fma_f64 v[56:57], v[82:83], 2.0, -v[8:9]
	v_add_f64_e64 v[48:49], v[98:99], -v[66:67]
	v_fma_f64 v[50:51], v[72:73], 2.0, -v[2:3]
	v_fma_f64 v[58:59], v[84:85], 2.0, -v[10:11]
	;; [unrolled: 1-line block ×17, first 2 shown]
	ds_store_b128 v160, v[2:5] offset:48000
	ds_store_b128 v160, v[6:9] offset:51200
	;; [unrolled: 1-line block ×19, first 2 shown]
	ds_store_b128 v160, v[86:89]
	global_wb scope:SCOPE_SE
	s_wait_dscnt 0x0
	s_barrier_signal -1
	s_barrier_wait -1
	global_inv scope:SCOPE_SE
	s_and_saveexec_b32 s0, vcc_lo
	s_cbranch_execz .LBB0_21
; %bb.20:
	v_mul_lo_u32 v0, s3, v44
	v_mul_lo_u32 v4, s2, v45
	v_mad_co_u64_u32 v[2:3], null, s2, v44, 0
	v_lshl_add_u32 v34, v42, 4, 0
	v_mov_b32_e32 v43, v1
	v_lshlrev_b64_e32 v[10:11], 4, v[40:41]
	ds_load_b128 v[6:9], v34 offset:3200
	v_add3_u32 v3, v3, v4, v0
	v_add_nc_u32_e32 v0, 0xc8, v42
	v_lshlrev_b64_e32 v[14:15], 4, v[42:43]
	s_delay_alu instid0(VALU_DEP_3)
	v_lshlrev_b64_e32 v[12:13], 4, v[2:3]
	ds_load_b128 v[2:5], v34
	v_add_co_u32 v16, vcc_lo, s6, v12
	s_wait_alu 0xfffd
	v_add_co_ci_u32_e32 v17, vcc_lo, s7, v13, vcc_lo
	v_lshlrev_b64_e32 v[12:13], 4, v[0:1]
	s_delay_alu instid0(VALU_DEP_3) | instskip(SKIP_1) | instid1(VALU_DEP_3)
	v_add_co_u32 v36, vcc_lo, v16, v10
	s_wait_alu 0xfffd
	v_add_co_ci_u32_e32 v37, vcc_lo, v17, v11, vcc_lo
	v_add_nc_u32_e32 v0, 0x190, v42
	s_delay_alu instid0(VALU_DEP_3) | instskip(SKIP_1) | instid1(VALU_DEP_3)
	v_add_co_u32 v18, vcc_lo, v36, v14
	s_wait_alu 0xfffd
	v_add_co_ci_u32_e32 v19, vcc_lo, v37, v15, vcc_lo
	v_add_co_u32 v20, vcc_lo, v36, v12
	v_lshlrev_b64_e32 v[22:23], 4, v[0:1]
	v_add_nc_u32_e32 v0, 0x258, v42
	s_wait_alu 0xfffd
	v_add_co_ci_u32_e32 v21, vcc_lo, v37, v13, vcc_lo
	ds_load_b128 v[10:13], v34 offset:6400
	ds_load_b128 v[14:17], v34 offset:60800
	s_wait_dscnt 0x2
	s_clause 0x1
	global_store_b128 v[18:19], v[2:5], off
	global_store_b128 v[20:21], v[6:9], off
	v_lshlrev_b64_e32 v[24:25], 4, v[0:1]
	v_add_nc_u32_e32 v0, 0x320, v42
	ds_load_b128 v[2:5], v34 offset:9600
	ds_load_b128 v[6:9], v34 offset:12800
	;; [unrolled: 1-line block ×3, first 2 shown]
	v_add_co_u32 v22, vcc_lo, v36, v22
	v_lshlrev_b64_e32 v[26:27], 4, v[0:1]
	v_add_nc_u32_e32 v0, 0x3e8, v42
	s_wait_alu 0xfffd
	v_add_co_ci_u32_e32 v23, vcc_lo, v37, v23, vcc_lo
	v_add_co_u32 v24, vcc_lo, v36, v24
	s_delay_alu instid0(VALU_DEP_3)
	v_lshlrev_b64_e32 v[28:29], 4, v[0:1]
	v_add_nc_u32_e32 v0, 0x4b0, v42
	s_wait_alu 0xfffd
	v_add_co_ci_u32_e32 v25, vcc_lo, v37, v25, vcc_lo
	v_add_co_u32 v26, vcc_lo, v36, v26
	s_wait_alu 0xfffd
	v_add_co_ci_u32_e32 v27, vcc_lo, v37, v27, vcc_lo
	v_add_co_u32 v28, vcc_lo, v36, v28
	v_lshlrev_b64_e32 v[30:31], 4, v[0:1]
	v_add_nc_u32_e32 v0, 0x578, v42
	s_wait_alu 0xfffd
	v_add_co_ci_u32_e32 v29, vcc_lo, v37, v29, vcc_lo
	s_wait_dscnt 0x4
	global_store_b128 v[22:23], v[10:13], off
	s_wait_dscnt 0x2
	global_store_b128 v[24:25], v[2:5], off
	ds_load_b128 v[2:5], v34 offset:19200
	v_lshlrev_b64_e32 v[22:23], 4, v[0:1]
	v_add_nc_u32_e32 v0, 0x640, v42
	s_wait_dscnt 0x2
	global_store_b128 v[26:27], v[6:9], off
	s_wait_dscnt 0x1
	global_store_b128 v[28:29], v[18:21], off
	ds_load_b128 v[6:9], v34 offset:22400
	ds_load_b128 v[10:13], v34 offset:25600
	;; [unrolled: 1-line block ×3, first 2 shown]
	v_add_co_u32 v24, vcc_lo, v36, v30
	v_lshlrev_b64_e32 v[26:27], 4, v[0:1]
	v_add_nc_u32_e32 v0, 0x708, v42
	s_wait_alu 0xfffd
	v_add_co_ci_u32_e32 v25, vcc_lo, v37, v31, vcc_lo
	v_add_co_u32 v22, vcc_lo, v36, v22
	s_delay_alu instid0(VALU_DEP_3)
	v_lshlrev_b64_e32 v[28:29], 4, v[0:1]
	s_wait_alu 0xfffd
	v_add_co_ci_u32_e32 v23, vcc_lo, v37, v23, vcc_lo
	v_add_nc_u32_e32 v0, 0x7d0, v42
	v_add_co_u32 v26, vcc_lo, v36, v26
	s_wait_alu 0xfffd
	v_add_co_ci_u32_e32 v27, vcc_lo, v37, v27, vcc_lo
	v_add_co_u32 v28, vcc_lo, v36, v28
	v_lshlrev_b64_e32 v[30:31], 4, v[0:1]
	v_add_nc_u32_e32 v0, 0x898, v42
	s_wait_alu 0xfffd
	v_add_co_ci_u32_e32 v29, vcc_lo, v37, v29, vcc_lo
	s_wait_dscnt 0x3
	global_store_b128 v[24:25], v[2:5], off
	s_wait_dscnt 0x2
	global_store_b128 v[22:23], v[6:9], off
	ds_load_b128 v[2:5], v34 offset:32000
	s_wait_dscnt 0x2
	global_store_b128 v[26:27], v[10:13], off
	s_wait_dscnt 0x1
	global_store_b128 v[28:29], v[18:21], off
	v_lshlrev_b64_e32 v[22:23], 4, v[0:1]
	v_add_nc_u32_e32 v0, 0x960, v42
	ds_load_b128 v[6:9], v34 offset:35200
	ds_load_b128 v[10:13], v34 offset:38400
	;; [unrolled: 1-line block ×3, first 2 shown]
	v_add_co_u32 v24, vcc_lo, v36, v30
	v_lshlrev_b64_e32 v[26:27], 4, v[0:1]
	v_add_nc_u32_e32 v0, 0xa28, v42
	s_wait_alu 0xfffd
	v_add_co_ci_u32_e32 v25, vcc_lo, v37, v31, vcc_lo
	v_add_co_u32 v22, vcc_lo, v36, v22
	s_delay_alu instid0(VALU_DEP_3) | instskip(SKIP_4) | instid1(VALU_DEP_3)
	v_lshlrev_b64_e32 v[28:29], 4, v[0:1]
	v_add_nc_u32_e32 v0, 0xaf0, v42
	s_wait_alu 0xfffd
	v_add_co_ci_u32_e32 v23, vcc_lo, v37, v23, vcc_lo
	v_add_co_u32 v26, vcc_lo, v36, v26
	v_lshlrev_b64_e32 v[30:31], 4, v[0:1]
	v_add_nc_u32_e32 v0, 0xbb8, v42
	s_wait_alu 0xfffd
	v_add_co_ci_u32_e32 v27, vcc_lo, v37, v27, vcc_lo
	v_add_co_u32 v28, vcc_lo, v36, v28
	s_wait_dscnt 0x3
	global_store_b128 v[24:25], v[2:5], off
	s_wait_dscnt 0x2
	global_store_b128 v[22:23], v[6:9], off
	v_lshlrev_b64_e32 v[6:7], 4, v[0:1]
	v_add_nc_u32_e32 v0, 0xc80, v42
	s_wait_alu 0xfffd
	v_add_co_ci_u32_e32 v29, vcc_lo, v37, v29, vcc_lo
	ds_load_b128 v[2:5], v34 offset:44800
	s_wait_dscnt 0x2
	global_store_b128 v[26:27], v[10:13], off
	s_wait_dscnt 0x1
	global_store_b128 v[28:29], v[18:21], off
	v_add_co_u32 v26, vcc_lo, v36, v30
	v_lshlrev_b64_e32 v[18:19], 4, v[0:1]
	s_wait_alu 0xfffd
	v_add_co_ci_u32_e32 v27, vcc_lo, v37, v31, vcc_lo
	v_add_co_u32 v28, vcc_lo, v36, v6
	v_add_nc_u32_e32 v0, 0xd48, v42
	s_wait_alu 0xfffd
	v_add_co_ci_u32_e32 v29, vcc_lo, v37, v7, vcc_lo
	v_add_co_u32 v32, vcc_lo, v36, v18
	ds_load_b128 v[6:9], v34 offset:48000
	ds_load_b128 v[10:13], v34 offset:51200
	s_wait_alu 0xfffd
	v_add_co_ci_u32_e32 v33, vcc_lo, v37, v19, vcc_lo
	ds_load_b128 v[18:21], v34 offset:54400
	ds_load_b128 v[22:25], v34 offset:57600
	v_lshlrev_b64_e32 v[30:31], 4, v[0:1]
	v_add_nc_u32_e32 v0, 0xe10, v42
	s_delay_alu instid0(VALU_DEP_1) | instskip(SKIP_1) | instid1(VALU_DEP_4)
	v_lshlrev_b64_e32 v[34:35], 4, v[0:1]
	v_add_nc_u32_e32 v0, 0xed8, v42
	v_add_co_u32 v30, vcc_lo, v36, v30
	s_wait_alu 0xfffd
	v_add_co_ci_u32_e32 v31, vcc_lo, v37, v31, vcc_lo
	s_delay_alu instid0(VALU_DEP_3) | instskip(SKIP_3) | instid1(VALU_DEP_3)
	v_lshlrev_b64_e32 v[0:1], 4, v[0:1]
	v_add_co_u32 v34, vcc_lo, v36, v34
	s_wait_alu 0xfffd
	v_add_co_ci_u32_e32 v35, vcc_lo, v37, v35, vcc_lo
	v_add_co_u32 v0, vcc_lo, v36, v0
	s_wait_alu 0xfffd
	v_add_co_ci_u32_e32 v1, vcc_lo, v37, v1, vcc_lo
	s_wait_dscnt 0x4
	global_store_b128 v[26:27], v[2:5], off
	s_wait_dscnt 0x3
	global_store_b128 v[28:29], v[6:9], off
	;; [unrolled: 2-line block ×4, first 2 shown]
	s_wait_dscnt 0x0
	s_clause 0x1
	global_store_b128 v[34:35], v[22:25], off
	global_store_b128 v[0:1], v[14:17], off
.LBB0_21:
	s_nop 0
	s_sendmsg sendmsg(MSG_DEALLOC_VGPRS)
	s_endpgm
	.section	.rodata,"a",@progbits
	.p2align	6, 0x0
	.amdhsa_kernel fft_rtc_fwd_len4000_factors_10_10_10_4_wgs_200_tpt_200_halfLds_dp_op_CI_CI_unitstride_sbrr_C2R_dirReg
		.amdhsa_group_segment_fixed_size 0
		.amdhsa_private_segment_fixed_size 0
		.amdhsa_kernarg_size 104
		.amdhsa_user_sgpr_count 2
		.amdhsa_user_sgpr_dispatch_ptr 0
		.amdhsa_user_sgpr_queue_ptr 0
		.amdhsa_user_sgpr_kernarg_segment_ptr 1
		.amdhsa_user_sgpr_dispatch_id 0
		.amdhsa_user_sgpr_private_segment_size 0
		.amdhsa_wavefront_size32 1
		.amdhsa_uses_dynamic_stack 0
		.amdhsa_enable_private_segment 0
		.amdhsa_system_sgpr_workgroup_id_x 1
		.amdhsa_system_sgpr_workgroup_id_y 0
		.amdhsa_system_sgpr_workgroup_id_z 0
		.amdhsa_system_sgpr_workgroup_info 0
		.amdhsa_system_vgpr_workitem_id 0
		.amdhsa_next_free_vgpr 195
		.amdhsa_next_free_sgpr 39
		.amdhsa_reserve_vcc 1
		.amdhsa_float_round_mode_32 0
		.amdhsa_float_round_mode_16_64 0
		.amdhsa_float_denorm_mode_32 3
		.amdhsa_float_denorm_mode_16_64 3
		.amdhsa_fp16_overflow 0
		.amdhsa_workgroup_processor_mode 1
		.amdhsa_memory_ordered 1
		.amdhsa_forward_progress 0
		.amdhsa_round_robin_scheduling 0
		.amdhsa_exception_fp_ieee_invalid_op 0
		.amdhsa_exception_fp_denorm_src 0
		.amdhsa_exception_fp_ieee_div_zero 0
		.amdhsa_exception_fp_ieee_overflow 0
		.amdhsa_exception_fp_ieee_underflow 0
		.amdhsa_exception_fp_ieee_inexact 0
		.amdhsa_exception_int_div_zero 0
	.end_amdhsa_kernel
	.text
.Lfunc_end0:
	.size	fft_rtc_fwd_len4000_factors_10_10_10_4_wgs_200_tpt_200_halfLds_dp_op_CI_CI_unitstride_sbrr_C2R_dirReg, .Lfunc_end0-fft_rtc_fwd_len4000_factors_10_10_10_4_wgs_200_tpt_200_halfLds_dp_op_CI_CI_unitstride_sbrr_C2R_dirReg
                                        ; -- End function
	.section	.AMDGPU.csdata,"",@progbits
; Kernel info:
; codeLenInByte = 15716
; NumSgprs: 41
; NumVgprs: 195
; ScratchSize: 0
; MemoryBound: 0
; FloatMode: 240
; IeeeMode: 1
; LDSByteSize: 0 bytes/workgroup (compile time only)
; SGPRBlocks: 5
; VGPRBlocks: 24
; NumSGPRsForWavesPerEU: 41
; NumVGPRsForWavesPerEU: 195
; Occupancy: 7
; WaveLimiterHint : 1
; COMPUTE_PGM_RSRC2:SCRATCH_EN: 0
; COMPUTE_PGM_RSRC2:USER_SGPR: 2
; COMPUTE_PGM_RSRC2:TRAP_HANDLER: 0
; COMPUTE_PGM_RSRC2:TGID_X_EN: 1
; COMPUTE_PGM_RSRC2:TGID_Y_EN: 0
; COMPUTE_PGM_RSRC2:TGID_Z_EN: 0
; COMPUTE_PGM_RSRC2:TIDIG_COMP_CNT: 0
	.text
	.p2alignl 7, 3214868480
	.fill 96, 4, 3214868480
	.type	__hip_cuid_72d4fc58583984bd,@object ; @__hip_cuid_72d4fc58583984bd
	.section	.bss,"aw",@nobits
	.globl	__hip_cuid_72d4fc58583984bd
__hip_cuid_72d4fc58583984bd:
	.byte	0                               ; 0x0
	.size	__hip_cuid_72d4fc58583984bd, 1

	.ident	"AMD clang version 19.0.0git (https://github.com/RadeonOpenCompute/llvm-project roc-6.4.0 25133 c7fe45cf4b819c5991fe208aaa96edf142730f1d)"
	.section	".note.GNU-stack","",@progbits
	.addrsig
	.addrsig_sym __hip_cuid_72d4fc58583984bd
	.amdgpu_metadata
---
amdhsa.kernels:
  - .args:
      - .actual_access:  read_only
        .address_space:  global
        .offset:         0
        .size:           8
        .value_kind:     global_buffer
      - .offset:         8
        .size:           8
        .value_kind:     by_value
      - .actual_access:  read_only
        .address_space:  global
        .offset:         16
        .size:           8
        .value_kind:     global_buffer
      - .actual_access:  read_only
        .address_space:  global
        .offset:         24
        .size:           8
        .value_kind:     global_buffer
      - .actual_access:  read_only
        .address_space:  global
        .offset:         32
        .size:           8
        .value_kind:     global_buffer
      - .offset:         40
        .size:           8
        .value_kind:     by_value
      - .actual_access:  read_only
        .address_space:  global
        .offset:         48
        .size:           8
        .value_kind:     global_buffer
      - .actual_access:  read_only
        .address_space:  global
        .offset:         56
        .size:           8
        .value_kind:     global_buffer
      - .offset:         64
        .size:           4
        .value_kind:     by_value
      - .actual_access:  read_only
        .address_space:  global
        .offset:         72
        .size:           8
        .value_kind:     global_buffer
      - .actual_access:  read_only
        .address_space:  global
        .offset:         80
        .size:           8
        .value_kind:     global_buffer
      - .actual_access:  read_only
        .address_space:  global
        .offset:         88
        .size:           8
        .value_kind:     global_buffer
      - .actual_access:  write_only
        .address_space:  global
        .offset:         96
        .size:           8
        .value_kind:     global_buffer
    .group_segment_fixed_size: 0
    .kernarg_segment_align: 8
    .kernarg_segment_size: 104
    .language:       OpenCL C
    .language_version:
      - 2
      - 0
    .max_flat_workgroup_size: 200
    .name:           fft_rtc_fwd_len4000_factors_10_10_10_4_wgs_200_tpt_200_halfLds_dp_op_CI_CI_unitstride_sbrr_C2R_dirReg
    .private_segment_fixed_size: 0
    .sgpr_count:     41
    .sgpr_spill_count: 0
    .symbol:         fft_rtc_fwd_len4000_factors_10_10_10_4_wgs_200_tpt_200_halfLds_dp_op_CI_CI_unitstride_sbrr_C2R_dirReg.kd
    .uniform_work_group_size: 1
    .uses_dynamic_stack: false
    .vgpr_count:     195
    .vgpr_spill_count: 0
    .wavefront_size: 32
    .workgroup_processor_mode: 1
amdhsa.target:   amdgcn-amd-amdhsa--gfx1201
amdhsa.version:
  - 1
  - 2
...

	.end_amdgpu_metadata
